;; amdgpu-corpus repo=ROCm/rocFFT kind=compiled arch=gfx1201 opt=O3
	.text
	.amdgcn_target "amdgcn-amd-amdhsa--gfx1201"
	.amdhsa_code_object_version 6
	.protected	bluestein_single_back_len320_dim1_half_op_CI_CI ; -- Begin function bluestein_single_back_len320_dim1_half_op_CI_CI
	.globl	bluestein_single_back_len320_dim1_half_op_CI_CI
	.p2align	8
	.type	bluestein_single_back_len320_dim1_half_op_CI_CI,@function
bluestein_single_back_len320_dim1_half_op_CI_CI: ; @bluestein_single_back_len320_dim1_half_op_CI_CI
; %bb.0:
	s_load_b128 s[16:19], s[0:1], 0x28
	v_lshrrev_b32_e32 v1, 4, v0
	v_mov_b32_e32 v33, 0
	s_mov_b32 s2, exec_lo
	s_delay_alu instid0(VALU_DEP_2) | instskip(SKIP_1) | instid1(VALU_DEP_1)
	v_lshl_or_b32 v32, ttmp9, 2, v1
	s_wait_kmcnt 0x0
	v_cmpx_gt_u64_e64 s[16:17], v[32:33]
	s_cbranch_execz .LBB0_2
; %bb.1:
	s_clause 0x1
	s_load_b128 s[8:11], s[0:1], 0x18
	s_load_b128 s[4:7], s[0:1], 0x0
	v_and_b32_e32 v83, 15, v0
	v_mul_u32_u24_e32 v35, 0x140, v1
	v_or_b32_e32 v0, 48, v0
	s_load_b64 s[0:1], s[0:1], 0x38
	s_delay_alu instid0(VALU_DEP_2) | instskip(NEXT) | instid1(VALU_DEP_1)
	v_or_b32_e32 v1, v35, v83
	v_lshlrev_b32_e32 v60, 2, v1
	s_wait_kmcnt 0x0
	s_load_b128 s[12:15], s[8:9], 0x0
	s_wait_kmcnt 0x0
	v_mad_co_u64_u32 v[2:3], null, s14, v32, 0
	v_mad_co_u64_u32 v[4:5], null, s12, v83, 0
	v_lshlrev_b32_e32 v34, 2, v83
	s_lshl_b64 s[2:3], s[12:13], 7
	s_mul_i32 s8, s13, 0xfffffbc0
	s_delay_alu instid0(SALU_CYCLE_1) | instskip(NEXT) | instid1(VALU_DEP_2)
	s_sub_co_i32 s8, s8, s12
	v_mad_co_u64_u32 v[6:7], null, s15, v32, v[3:4]
	s_delay_alu instid0(VALU_DEP_3)
	v_mov_b32_e32 v3, v5
	s_clause 0x12
	global_load_b32 v85, v34, s[4:5]
	global_load_b32 v80, v34, s[4:5] offset:512
	global_load_b32 v71, v34, s[4:5] offset:1024
	;; [unrolled: 1-line block ×18, first 2 shown]
	v_mad_co_u64_u32 v[7:8], null, s13, v83, v[3:4]
	v_mov_b32_e32 v3, v6
	v_lshl_or_b32 v58, v35, 2, v34
	s_delay_alu instid0(VALU_DEP_2) | instskip(NEXT) | instid1(VALU_DEP_4)
	v_lshlrev_b64_e32 v[2:3], 2, v[2:3]
	v_mov_b32_e32 v5, v7
	s_delay_alu instid0(VALU_DEP_3) | instskip(NEXT) | instid1(VALU_DEP_2)
	v_add_nc_u32_e32 v73, 0x400, v58
	v_lshlrev_b64_e32 v[4:5], 2, v[4:5]
	s_delay_alu instid0(VALU_DEP_4) | instskip(SKIP_1) | instid1(VALU_DEP_2)
	v_add_co_u32 v2, vcc_lo, s18, v2
	v_add_co_ci_u32_e32 v3, vcc_lo, s19, v3, vcc_lo
	v_add_co_u32 v2, vcc_lo, v2, v4
	s_wait_alu 0xfffd
	s_delay_alu instid0(VALU_DEP_2)
	v_add_co_ci_u32_e32 v3, vcc_lo, v3, v5, vcc_lo
	global_load_b32 v8, v[2:3], off
	global_load_b32 v49, v34, s[4:5] offset:1088
	v_add_co_u32 v4, vcc_lo, v2, s2
	s_wait_alu 0xfffd
	v_add_co_ci_u32_e32 v5, vcc_lo, s3, v3, vcc_lo
	s_delay_alu instid0(VALU_DEP_2) | instskip(SKIP_1) | instid1(VALU_DEP_2)
	v_add_co_u32 v2, vcc_lo, v4, s2
	s_wait_alu 0xfffd
	v_add_co_ci_u32_e32 v3, vcc_lo, s3, v5, vcc_lo
	s_clause 0x1
	global_load_b32 v9, v[4:5], off
	global_load_b32 v10, v[2:3], off
	v_add_co_u32 v4, vcc_lo, v2, s2
	s_wait_alu 0xfffd
	v_add_co_ci_u32_e32 v5, vcc_lo, s3, v3, vcc_lo
	s_delay_alu instid0(VALU_DEP_2) | instskip(SKIP_1) | instid1(VALU_DEP_2)
	v_add_co_u32 v2, vcc_lo, v4, s2
	s_wait_alu 0xfffd
	v_add_co_ci_u32_e32 v3, vcc_lo, s3, v5, vcc_lo
	s_clause 0x1
	global_load_b32 v11, v[4:5], off
	global_load_b32 v12, v[2:3], off
	v_add_co_u32 v4, vcc_lo, v2, s2
	s_wait_alu 0xfffd
	v_add_co_ci_u32_e32 v5, vcc_lo, s3, v3, vcc_lo
	s_delay_alu instid0(VALU_DEP_2) | instskip(SKIP_1) | instid1(VALU_DEP_2)
	v_add_co_u32 v2, vcc_lo, v4, s2
	s_wait_alu 0xfffd
	v_add_co_ci_u32_e32 v3, vcc_lo, s3, v5, vcc_lo
	global_load_b32 v13, v[4:5], off
	v_add_co_u32 v4, vcc_lo, v2, s2
	s_wait_alu 0xfffd
	v_add_co_ci_u32_e32 v5, vcc_lo, s3, v3, vcc_lo
	global_load_b32 v14, v[2:3], off
	;; [unrolled: 4-line block ×4, first 2 shown]
	v_mad_co_u64_u32 v[4:5], null, 0xfffffbc0, s12, v[2:3]
	global_load_b32 v7, v[2:3], off
	v_add_nc_u32_e32 v5, s8, v5
	v_add_co_u32 v2, vcc_lo, v4, s2
	s_wait_alu 0xfffd
	s_delay_alu instid0(VALU_DEP_2)
	v_add_co_ci_u32_e32 v3, vcc_lo, s3, v5, vcc_lo
	global_load_b32 v16, v[4:5], off
	global_load_b32 v17, v[2:3], off
	v_add_co_u32 v2, vcc_lo, v2, s2
	s_wait_alu 0xfffd
	v_add_co_ci_u32_e32 v3, vcc_lo, s3, v3, vcc_lo
	s_delay_alu instid0(VALU_DEP_2) | instskip(SKIP_1) | instid1(VALU_DEP_2)
	v_add_co_u32 v4, vcc_lo, v2, s2
	s_wait_alu 0xfffd
	v_add_co_ci_u32_e32 v5, vcc_lo, s3, v3, vcc_lo
	global_load_b32 v18, v[2:3], off
	v_add_co_u32 v2, vcc_lo, v4, s2
	s_wait_alu 0xfffd
	v_add_co_ci_u32_e32 v3, vcc_lo, s3, v5, vcc_lo
	global_load_b32 v19, v[4:5], off
	global_load_b32 v20, v[2:3], off
	v_add_co_u32 v2, vcc_lo, v2, s2
	s_wait_alu 0xfffd
	v_add_co_ci_u32_e32 v3, vcc_lo, s3, v3, vcc_lo
	s_delay_alu instid0(VALU_DEP_2) | instskip(SKIP_1) | instid1(VALU_DEP_2)
	v_add_co_u32 v4, vcc_lo, v2, s2
	s_wait_alu 0xfffd
	v_add_co_ci_u32_e32 v5, vcc_lo, s3, v3, vcc_lo
	global_load_b32 v21, v[2:3], off
	v_add_co_u32 v2, vcc_lo, v4, s2
	s_wait_alu 0xfffd
	v_add_co_ci_u32_e32 v3, vcc_lo, s3, v5, vcc_lo
	global_load_b32 v22, v[4:5], off
	;; [unrolled: 4-line block ×4, first 2 shown]
	global_load_b32 v2, v[2:3], off
	s_load_b128 s[8:11], s[10:11], 0x0
	v_cmp_gt_u32_e32 vcc_lo, 10, v83
	s_wait_loadcnt 0x24
	v_lshrrev_b32_e32 v63, 16, v62
	s_wait_loadcnt 0x23
	v_lshrrev_b32_e32 v88, 16, v84
	;; [unrolled: 2-line block ×3, first 2 shown]
	v_lshrrev_b32_e32 v91, 16, v85
	v_lshrrev_b32_e32 v89, 16, v86
	;; [unrolled: 1-line block ×4, first 2 shown]
	s_wait_loadcnt 0x18
	v_lshrrev_b32_e32 v81, 16, v79
	v_lshrrev_b32_e32 v78, 16, v77
	;; [unrolled: 1-line block ×3, first 2 shown]
	s_wait_loadcnt 0x16
	v_lshrrev_b32_e32 v72, 16, v70
	v_lshrrev_b32_e32 v69, 16, v68
	;; [unrolled: 1-line block ×8, first 2 shown]
	s_wait_loadcnt 0x15
	v_lshrrev_b32_e32 v50, 16, v48
	s_wait_loadcnt 0x14
	v_lshrrev_b32_e32 v1, 16, v8
	v_mul_f16_e32 v3, v91, v8
	s_wait_loadcnt 0x13
	v_lshrrev_b32_e32 v52, 16, v49
	s_delay_alu instid0(VALU_DEP_3) | instskip(NEXT) | instid1(VALU_DEP_3)
	v_mul_f16_e32 v5, v91, v1
	v_fma_f16 v1, v85, v1, -v3
	s_delay_alu instid0(VALU_DEP_2)
	v_fmac_f16_e32 v5, v85, v8
	s_wait_loadcnt 0x12
	v_lshrrev_b32_e32 v24, 16, v9
	v_mul_f16_e32 v25, v90, v9
	s_wait_loadcnt 0x11
	v_lshrrev_b32_e32 v8, 16, v10
	v_pack_b32_f16 v1, v5, v1
	v_mul_f16_e32 v3, v90, v24
	v_fma_f16 v24, v87, v24, -v25
	v_mul_f16_e32 v25, v89, v10
	v_mul_f16_e32 v5, v89, v8
	s_delay_alu instid0(VALU_DEP_4) | instskip(NEXT) | instid1(VALU_DEP_3)
	v_fmac_f16_e32 v3, v87, v9
	v_fma_f16 v8, v86, v8, -v25
	s_wait_loadcnt 0x10
	v_lshrrev_b32_e32 v9, 16, v11
	v_mul_f16_e32 v26, v88, v11
	v_pack_b32_f16 v3, v3, v24
	s_wait_loadcnt 0xf
	v_lshrrev_b32_e32 v24, 16, v12
	v_fmac_f16_e32 v5, v86, v10
	v_mul_f16_e32 v10, v88, v9
	v_mul_f16_e32 v25, v82, v12
	ds_store_b32 v60, v1
	ds_store_b32 v60, v3 offset:128
	v_mul_f16_e32 v3, v82, v24
	v_fma_f16 v9, v84, v9, -v26
	v_pack_b32_f16 v1, v5, v8
	v_fmac_f16_e32 v10, v84, v11
	v_fma_f16 v8, v80, v24, -v25
	s_wait_loadcnt 0xe
	v_lshrrev_b32_e32 v5, 16, v13
	v_mul_f16_e32 v11, v81, v13
	v_fmac_f16_e32 v3, v80, v12
	v_pack_b32_f16 v9, v10, v9
	s_wait_loadcnt 0xd
	v_lshrrev_b32_e32 v12, 16, v14
	v_mul_f16_e32 v10, v81, v5
	v_fma_f16 v5, v79, v5, -v11
	v_mul_f16_e32 v11, v78, v14
	v_pack_b32_f16 v3, v3, v8
	v_mul_f16_e32 v8, v78, v12
	v_fmac_f16_e32 v10, v79, v13
	s_wait_loadcnt 0xc
	v_lshrrev_b32_e32 v13, 16, v15
	v_fma_f16 v11, v77, v12, -v11
	v_mul_f16_e32 v12, v76, v15
	v_fmac_f16_e32 v8, v77, v14
	s_wait_loadcnt 0xb
	v_lshrrev_b32_e32 v14, 16, v6
	v_pack_b32_f16 v5, v10, v5
	v_mul_f16_e32 v10, v76, v13
	v_fma_f16 v12, v75, v13, -v12
	s_wait_loadcnt 0xa
	v_lshrrev_b32_e32 v13, 16, v7
	v_mul_f16_e32 v24, v74, v6
	v_pack_b32_f16 v8, v8, v11
	v_mul_f16_e32 v11, v74, v14
	v_mul_f16_e32 v25, v72, v7
	;; [unrolled: 1-line block ×3, first 2 shown]
	v_fmac_f16_e32 v10, v75, v15
	v_fma_f16 v14, v71, v14, -v24
	v_fmac_f16_e32 v11, v71, v6
	v_fma_f16 v6, v70, v13, -v25
	v_fmac_f16_e32 v26, v70, v7
	v_pack_b32_f16 v10, v10, v12
	s_wait_loadcnt 0x9
	v_lshrrev_b32_e32 v7, 16, v16
	v_mul_f16_e32 v12, v69, v16
	v_pack_b32_f16 v11, v11, v14
	s_wait_loadcnt 0x8
	v_lshrrev_b32_e32 v14, 16, v17
	v_pack_b32_f16 v6, v26, v6
	v_mul_f16_e32 v13, v69, v7
	v_fma_f16 v7, v68, v7, -v12
	v_mul_f16_e32 v12, v67, v17
	ds_store_b32 v58, v1 offset:256
	ds_store_b32 v58, v9 offset:384
	;; [unrolled: 1-line block ×8, first 2 shown]
	v_mul_f16_e32 v1, v67, v14
	v_fmac_f16_e32 v13, v68, v16
	v_fma_f16 v5, v66, v14, -v12
	s_wait_loadcnt 0x7
	v_lshrrev_b32_e32 v3, 16, v18
	v_mul_f16_e32 v6, v65, v18
	v_fmac_f16_e32 v1, v66, v17
	v_pack_b32_f16 v7, v13, v7
	s_delay_alu instid0(VALU_DEP_4)
	v_mul_f16_e32 v8, v65, v3
	s_wait_loadcnt 0x6
	v_lshrrev_b32_e32 v9, 16, v19
	v_mul_f16_e32 v10, v63, v19
	v_fma_f16 v3, v64, v3, -v6
	v_pack_b32_f16 v1, v1, v5
	v_fmac_f16_e32 v8, v64, v18
	v_mul_f16_e32 v5, v63, v9
	v_fma_f16 v6, v62, v9, -v10
	s_wait_loadcnt 0x5
	v_lshrrev_b32_e32 v9, 16, v20
	v_mul_f16_e32 v10, v61, v20
	ds_store_b32 v60, v7 offset:64
	ds_store_b32 v60, v1 offset:192
	v_pack_b32_f16 v1, v8, v3
	v_fmac_f16_e32 v5, v62, v19
	v_mul_f16_e32 v3, v61, v9
	v_fma_f16 v7, v59, v9, -v10
	s_wait_loadcnt 0x4
	v_lshrrev_b32_e32 v8, 16, v21
	v_mul_f16_e32 v9, v57, v21
	v_pack_b32_f16 v5, v5, v6
	v_fmac_f16_e32 v3, v59, v20
	s_wait_loadcnt 0x3
	v_lshrrev_b32_e32 v6, 16, v22
	v_mul_f16_e32 v10, v57, v8
	v_fma_f16 v8, v55, v8, -v9
	v_mul_f16_e32 v9, v56, v22
	v_pack_b32_f16 v3, v3, v7
	v_mul_f16_e32 v7, v56, v6
	s_wait_loadcnt 0x2
	v_lshrrev_b32_e32 v11, 16, v23
	v_fmac_f16_e32 v10, v55, v21
	v_fma_f16 v6, v53, v6, -v9
	v_mul_f16_e32 v9, v54, v23
	s_wait_loadcnt 0x1
	v_lshrrev_b32_e32 v12, 16, v4
	s_wait_loadcnt 0x0
	v_lshrrev_b32_e32 v14, 16, v2
	v_mul_f16_e32 v13, v54, v11
	v_mul_f16_e32 v16, v50, v2
	v_fma_f16 v9, v51, v11, -v9
	v_mul_f16_e32 v11, v52, v4
	v_mul_f16_e32 v15, v52, v12
	;; [unrolled: 1-line block ×3, first 2 shown]
	v_fmac_f16_e32 v7, v53, v22
	v_fmac_f16_e32 v13, v51, v23
	v_fma_f16 v11, v49, v12, -v11
	v_fmac_f16_e32 v15, v49, v4
	v_fma_f16 v4, v48, v14, -v16
	v_fmac_f16_e32 v17, v48, v2
	v_mul_u32_u24_e32 v16, 10, v83
	v_pack_b32_f16 v2, v10, v8
	v_pack_b32_f16 v6, v7, v6
	;; [unrolled: 1-line block ×5, first 2 shown]
	ds_store_b32 v58, v1 offset:320
	ds_store_b32 v58, v5 offset:448
	;; [unrolled: 1-line block ×8, first 2 shown]
	global_wb scope:SCOPE_SE
	s_wait_dscnt 0x0
	s_wait_kmcnt 0x0
	s_barrier_signal -1
	s_barrier_wait -1
	global_inv scope:SCOPE_SE
	ds_load_2addr_b32 v[7:8], v58 offset0:128 offset1:144
	ds_load_2addr_b32 v[3:4], v58 offset0:192 offset1:208
	;; [unrolled: 1-line block ×3, first 2 shown]
	ds_load_2addr_b32 v[1:2], v73 offset1:16
	ds_load_2addr_b32 v[5:6], v60 offset1:16
	ds_load_2addr_b32 v[12:13], v60 offset0:32 offset1:48
	ds_load_2addr_b32 v[14:15], v58 offset0:96 offset1:112
	v_add_lshl_u32 v94, v35, v16, 2
	ds_load_2addr_b32 v[16:17], v58 offset0:160 offset1:176
	ds_load_2addr_b32 v[18:19], v58 offset0:224 offset1:240
	;; [unrolled: 1-line block ×3, first 2 shown]
	v_or_b32_e32 v11, 16, v83
	global_wb scope:SCOPE_SE
	s_wait_dscnt 0x0
	s_barrier_signal -1
	s_barrier_wait -1
	global_inv scope:SCOPE_SE
	v_lshrrev_b32_e32 v25, 16, v7
	v_add_f16_e32 v22, v7, v3
	v_lshrrev_b32_e32 v23, 16, v9
	v_lshrrev_b32_e32 v24, 16, v1
	;; [unrolled: 1-line block ×3, first 2 shown]
	v_sub_f16_e32 v27, v1, v3
	v_sub_f16_e32 v28, v9, v7
	v_add_f16_e32 v29, v9, v1
	v_sub_f16_e32 v30, v3, v1
	v_sub_f16_e32 v31, v7, v9
	v_pk_add_f16 v36, v5, v9
	v_pk_add_f16 v39, v12, v14
	v_add_f16_e32 v40, v8, v4
	v_pk_add_f16 v42, v6, v10
	v_add_f16_e32 v46, v10, v2
	v_pk_add_f16 v96, v13, v15
	v_lshrrev_b32_e32 v97, 16, v20
	v_sub_f16_e32 v99, v20, v18
	v_add_f16_e32 v101, v14, v20
	v_sub_f16_e32 v102, v18, v20
	v_sub_f16_e32 v103, v14, v20
	v_add_f16_e32 v106, v15, v21
	v_lshrrev_b32_e32 v109, 16, v14
	v_sub_f16_e32 v110, v14, v16
	v_sub_f16_e32 v14, v16, v14
	v_add_f16_e32 v113, v16, v18
	v_lshrrev_b32_e32 v114, 16, v16
	v_add_f16_e32 v116, v17, v19
	v_lshrrev_b32_e32 v119, 16, v18
	v_lshrrev_b32_e32 v37, 16, v5
	v_sub_f16_e32 v38, v7, v3
	v_lshrrev_b32_e32 v41, 16, v10
	v_lshrrev_b32_e32 v43, 16, v2
	;; [unrolled: 1-line block ×3, first 2 shown]
	v_sub_f16_e32 v45, v10, v8
	v_sub_f16_e32 v47, v8, v10
	;; [unrolled: 1-line block ×5, first 2 shown]
	v_lshrrev_b32_e32 v98, 16, v4
	v_lshrrev_b32_e32 v100, 16, v6
	v_sub_f16_e32 v108, v15, v21
	v_lshrrev_b32_e32 v111, 16, v15
	v_sub_f16_e32 v112, v15, v17
	v_sub_f16_e32 v15, v17, v15
	;; [unrolled: 1-line block ×3, first 2 shown]
	v_lshrrev_b32_e32 v117, 16, v17
	v_sub_f16_e32 v118, v17, v19
	v_lshrrev_b32_e32 v121, 16, v12
	v_lshrrev_b32_e32 v122, 16, v13
	v_pk_add_f16 v7, v36, v7
	v_pk_add_f16 v8, v42, v8
	;; [unrolled: 1-line block ×4, first 2 shown]
	v_fma_f16 v22, -0.5, v22, v5
	v_fma_f16 v5, -0.5, v29, v5
	;; [unrolled: 1-line block ×8, first 2 shown]
	v_add_f16_e32 v27, v28, v27
	v_add_f16_e32 v28, v31, v30
	v_sub_f16_e32 v30, v25, v26
	v_add_f16_e32 v31, v25, v26
	v_sub_f16_e32 v40, v23, v25
	v_sub_f16_e32 v25, v25, v23
	;; [unrolled: 1-line block ×3, first 2 shown]
	v_add_f16_e32 v23, v23, v24
	v_sub_f16_e32 v46, v24, v26
	v_sub_f16_e32 v24, v26, v24
	v_add_f16_e32 v26, v110, v99
	v_add_f16_e32 v14, v14, v102
	;; [unrolled: 1-line block ×3, first 2 shown]
	v_sub_f16_e32 v101, v109, v114
	v_sub_f16_e32 v102, v114, v109
	;; [unrolled: 1-line block ×3, first 2 shown]
	v_add_f16_e32 v109, v109, v97
	v_sub_f16_e32 v110, v97, v119
	v_sub_f16_e32 v97, v119, v97
	;; [unrolled: 1-line block ×3, first 2 shown]
	v_add_f16_e32 v45, v45, v92
	v_add_f16_e32 v47, v47, v95
	v_sub_f16_e32 v92, v44, v98
	v_add_f16_e32 v95, v44, v98
	v_sub_f16_e32 v113, v41, v44
	v_sub_f16_e32 v44, v44, v41
	;; [unrolled: 1-line block ×3, first 2 shown]
	v_add_f16_e32 v41, v41, v43
	v_pk_add_f16 v3, v7, v3
	v_pk_add_f16 v4, v8, v4
	;; [unrolled: 1-line block ×4, first 2 shown]
	v_fma_f16 v17, -0.5, v31, v37
	v_fmac_f16_e32 v37, -0.5, v23
	v_add_f16_e32 v18, v25, v24
	v_fma_f16 v23, -0.5, v99, v121
	v_fmac_f16_e32 v121, -0.5, v109
	v_add_f16_e32 v24, v102, v97
	v_fmamk_f16 v97, v106, 0x3b9c, v36
	v_lshrrev_b32_e32 v104, 16, v21
	v_sub_f16_e32 v105, v21, v19
	v_sub_f16_e32 v107, v19, v21
	v_lshrrev_b32_e32 v120, 16, v19
	v_fmamk_f16 v99, v96, 0xbb9c, v12
	v_sub_f16_e32 v10, v10, v2
	v_fma_f16 v31, -0.5, v95, v100
	v_fmac_f16_e32 v100, -0.5, v41
	v_fmamk_f16 v95, v30, 0xbb9c, v5
	v_fmac_f16_e32 v5, 0x3b9c, v30
	v_pk_add_f16 v109, v4, v2
	v_pk_add_f16 v2, v7, v20
	;; [unrolled: 1-line block ×3, first 2 shown]
	v_fmac_f16_e32 v97, 0x38b4, v96
	v_fmamk_f16 v8, v103, 0xbb9c, v23
	v_fmamk_f16 v21, v115, 0x3b9c, v121
	v_sub_f16_e32 v116, v43, v98
	v_sub_f16_e32 v43, v98, v43
	v_add_f16_e32 v98, v112, v105
	v_add_f16_e32 v15, v15, v107
	v_sub_f16_e32 v105, v117, v120
	v_add_f16_e32 v107, v117, v120
	v_sub_f16_e32 v112, v111, v117
	v_sub_f16_e32 v117, v117, v111
	;; [unrolled: 1-line block ×3, first 2 shown]
	v_add_f16_e32 v111, v111, v104
	v_fmac_f16_e32 v12, 0x3b9c, v96
	v_fmac_f16_e32 v99, 0x38b4, v106
	;; [unrolled: 1-line block ×4, first 2 shown]
	v_sub_f16_e32 v9, v9, v1
	v_fmac_f16_e32 v36, 0xbb9c, v106
	v_sub_f16_e32 v123, v104, v120
	v_sub_f16_e32 v104, v120, v104
	v_add_f16_e32 v16, v40, v46
	v_add_f16_e32 v19, v101, v110
	v_fmamk_f16 v46, v42, 0x3b9c, v22
	v_fmac_f16_e32 v22, 0xbb9c, v42
	v_fmac_f16_e32 v95, 0x38b4, v42
	;; [unrolled: 1-line block ×3, first 2 shown]
	v_fmamk_f16 v7, v38, 0x3b9c, v37
	v_fmac_f16_e32 v37, 0xbb9c, v38
	v_fmamk_f16 v42, v93, 0x3b9c, v100
	v_fmac_f16_e32 v100, 0xbb9c, v93
	v_fmac_f16_e32 v97, 0x34f2, v26
	;; [unrolled: 1-line block ×4, first 2 shown]
	v_add_f16_e32 v40, v44, v43
	v_fma_f16 v43, -0.5, v107, v122
	v_fmac_f16_e32 v122, -0.5, v111
	v_fmamk_f16 v107, v105, 0xbb9c, v13
	v_fmac_f16_e32 v13, 0x3b9c, v105
	v_fmac_f16_e32 v12, 0xb8b4, v106
	;; [unrolled: 1-line block ×5, first 2 shown]
	v_fmamk_f16 v101, v114, 0x3b9c, v29
	v_fmac_f16_e32 v29, 0xbb9c, v114
	v_fmac_f16_e32 v36, 0xb8b4, v96
	v_fmamk_f16 v4, v9, 0xbb9c, v17
	v_fmac_f16_e32 v17, 0x3b9c, v9
	v_add_f16_e32 v44, v117, v104
	v_fmamk_f16 v104, v119, 0x3b9c, v39
	v_fmac_f16_e32 v46, 0x38b4, v30
	v_fmac_f16_e32 v22, 0xb8b4, v30
	v_fmamk_f16 v30, v10, 0xbb9c, v31
	v_fmac_f16_e32 v31, 0x3b9c, v10
	v_fmac_f16_e32 v7, 0xb8b4, v9
	;; [unrolled: 1-line block ×7, first 2 shown]
	v_mul_f16_e32 v9, 0x3a79, v97
	v_mul_f16_e32 v10, 0xb8b4, v97
	v_fmac_f16_e32 v39, 0xbb9c, v119
	v_fmac_f16_e32 v107, 0x38b4, v119
	;; [unrolled: 1-line block ×3, first 2 shown]
	v_fmamk_f16 v96, v118, 0x3b9c, v122
	v_fmac_f16_e32 v122, 0xbb9c, v118
	v_fmac_f16_e32 v12, 0x34f2, v14
	;; [unrolled: 1-line block ×4, first 2 shown]
	v_mul_f16_e32 v14, 0xbb9c, v99
	v_fmamk_f16 v102, v92, 0xbb9c, v6
	v_fmac_f16_e32 v6, 0x3b9c, v92
	v_fmac_f16_e32 v101, 0x38b4, v92
	;; [unrolled: 1-line block ×3, first 2 shown]
	v_fmamk_f16 v92, v108, 0xbb9c, v43
	v_fmac_f16_e32 v43, 0x3b9c, v108
	v_fmac_f16_e32 v4, 0xb8b4, v38
	;; [unrolled: 1-line block ×7, first 2 shown]
	v_mul_f16_e32 v8, 0x3b9c, v21
	v_fmac_f16_e32 v39, 0xb8b4, v105
	v_fmac_f16_e32 v107, 0x34f2, v15
	;; [unrolled: 1-line block ×5, first 2 shown]
	v_mul_f16_e32 v15, 0xb4f2, v12
	v_fmac_f16_e32 v14, 0x34f2, v21
	v_mul_f16_e32 v19, 0xb4f2, v121
	v_mul_f16_e32 v21, 0xba79, v23
	v_add_f16_e32 v41, v112, v123
	v_fmac_f16_e32 v43, 0x38b4, v118
	v_fmac_f16_e32 v4, 0x34f2, v16
	;; [unrolled: 1-line block ×3, first 2 shown]
	v_mul_f16_e32 v16, 0xba79, v36
	v_fmac_f16_e32 v95, 0x34f2, v28
	v_fmac_f16_e32 v104, 0x34f2, v98
	;; [unrolled: 1-line block ×4, first 2 shown]
	v_add_f16_e32 v25, v113, v116
	v_fmac_f16_e32 v5, 0x34f2, v28
	v_fmac_f16_e32 v30, 0xb8b4, v93
	;; [unrolled: 1-line block ×16, first 2 shown]
	v_mul_f16_e32 v36, 0xb4f2, v13
	v_fmac_f16_e32 v92, 0x34f2, v41
	v_add_f16_e32 v26, v95, v8
	v_sub_f16_e32 v27, v95, v8
	v_mul_f16_e32 v8, 0xb8b4, v104
	v_fmac_f16_e32 v102, 0x38b4, v114
	v_fmac_f16_e32 v30, 0x34f2, v25
	;; [unrolled: 1-line block ×5, first 2 shown]
	v_mul_f16_e32 v18, 0x3a79, v104
	v_add_f16_e32 v23, v5, v15
	v_sub_f16_e32 v15, v5, v15
	v_add_f16_e32 v25, v7, v14
	v_sub_f16_e32 v14, v7, v14
	;; [unrolled: 2-line block ×4, first 2 shown]
	v_mul_f16_e32 v5, 0x3b9c, v96
	v_mul_f16_e32 v21, 0xbb9c, v107
	;; [unrolled: 1-line block ×4, first 2 shown]
	v_pk_add_f16 v3, v3, v1
	v_fmac_f16_e32 v6, 0x34f2, v47
	v_add_f16_e32 v12, v46, v9
	v_add_f16_e32 v24, v22, v16
	v_sub_f16_e32 v16, v22, v16
	v_add_f16_e32 v22, v4, v10
	v_fmac_f16_e32 v36, 0x3b9c, v122
	v_mul_f16_e32 v41, 0xba79, v43
	v_sub_f16_e32 v9, v46, v9
	v_sub_f16_e32 v10, v4, v10
	v_fmac_f16_e32 v8, 0x3a79, v92
	v_fmac_f16_e32 v101, 0x34f2, v45
	;; [unrolled: 1-line block ×7, first 2 shown]
	v_mul_u32_u24_e32 v38, 10, v11
	v_fmac_f16_e32 v37, 0x38b4, v43
	v_fmac_f16_e32 v40, 0xbb9c, v13
	v_pk_add_f16 v1, v3, v2
	v_pk_add_f16 v4, v3, v2 neg_lo:[0,1] neg_hi:[0,1]
	v_fmac_f16_e32 v41, 0xb8b4, v39
	v_add_f16_e32 v43, v6, v36
	v_sub_f16_e32 v36, v6, v36
	v_pack_b32_f16 v2, v12, v22
	v_pack_b32_f16 v7, v23, v7
	;; [unrolled: 1-line block ×3, first 2 shown]
	v_add_f16_e32 v46, v30, v8
	v_sub_f16_e32 v30, v30, v8
	v_pack_b32_f16 v8, v9, v10
	v_pack_b32_f16 v9, v27, v14
	;; [unrolled: 1-line block ×5, first 2 shown]
	v_add_lshl_u32 v95, v35, v38, 2
	v_add_f16_e32 v38, v101, v18
	v_add_f16_e32 v39, v102, v5
	v_add_f16_e32 v45, v29, v37
	v_sub_f16_e32 v29, v29, v37
	v_add_f16_e32 v37, v42, v21
	v_add_f16_e32 v47, v100, v40
	v_sub_f16_e32 v18, v101, v18
	v_sub_f16_e32 v44, v102, v5
	;; [unrolled: 1-line block ×3, first 2 shown]
	v_add_f16_e32 v42, v31, v41
	ds_store_2addr_b64 v94, v[1:2], v[6:7] offset1:1
	ds_store_2addr_b64 v94, v[3:4], v[8:9] offset0:2 offset1:3
	ds_store_b64 v94, v[12:13] offset:32
	v_add_nc_u32_e32 v3, -10, v83
	v_pk_add_f16 v5, v109, v20
	v_pack_b32_f16 v6, v38, v46
	v_pack_b32_f16 v2, v43, v47
	;; [unrolled: 1-line block ×3, first 2 shown]
	v_pk_add_f16 v4, v109, v20 neg_lo:[0,1] neg_hi:[0,1]
	v_pack_b32_f16 v7, v18, v30
	s_wait_alu 0xfffd
	v_cndmask_b32_e32 v15, v3, v83, vcc_lo
	v_pack_b32_f16 v8, v44, v21
	v_pack_b32_f16 v3, v45, v42
	ds_store_2addr_b64 v95, v[5:6], v[1:2] offset1:1
	ds_store_2addr_b64 v95, v[3:4], v[7:8] offset0:2 offset1:3
	v_mul_lo_u16 v3, v11, 26
	v_sub_f16_e32 v41, v31, v41
	v_mad_co_u64_u32 v[30:31], null, s10, v32, 0
	v_mul_hi_i32_i24_e32 v2, 12, v15
	s_delay_alu instid0(VALU_DEP_4)
	v_lshrrev_b16 v16, 8, v3
	v_or_b32_e32 v4, 64, v83
	v_mul_lo_u16 v6, v0, 26
	v_pack_b32_f16 v10, v29, v41
	v_sub_f16_e32 v40, v100, v40
	v_mul_lo_u16 v5, v16, 10
	v_add_nc_u32_e32 v25, -8, v83
	v_lshrrev_b16 v22, 8, v6
	v_add_nc_u32_e32 v93, 0x400, v60
	v_pack_b32_f16 v9, v36, v40
	v_sub_nc_u16 v18, v11, v5
	s_delay_alu instid0(VALU_DEP_4)
	v_mul_lo_u16 v6, v22, 10
	ds_store_b64 v95, v[9:10] offset:32
	v_mad_u16 v16, v16, 40, v18
	v_mov_b32_e32 v1, v31
	v_sub_nc_u16 v0, v0, v6
	global_wb scope:SCOPE_SE
	s_wait_dscnt 0x0
	s_barrier_signal -1
	v_and_b32_e32 v16, 0xff, v16
	v_mad_co_u64_u32 v[31:32], null, s11, v32, v[1:2]
	v_or_b32_e32 v32, 32, v83
	v_and_b32_e32 v23, 0xff, v0
	s_barrier_wait -1
	global_inv scope:SCOPE_SE
	v_add_lshl_u32 v98, v35, v16, 2
	v_mul_lo_u16 v3, v32, 26
	v_mad_co_u64_u32 v[8:9], null, v23, 12, s[6:7]
	s_mov_b32 s10, 0x9999999a
	s_mov_b32 s11, 0x3f699999
	s_delay_alu instid0(VALU_DEP_2) | instskip(SKIP_1) | instid1(VALU_DEP_2)
	v_lshrrev_b16 v17, 8, v3
	v_mul_lo_u16 v3, 0x67, v4
	v_mul_lo_u16 v5, v17, 10
	s_delay_alu instid0(VALU_DEP_2) | instskip(SKIP_2) | instid1(VALU_DEP_4)
	v_lshrrev_b16 v19, 10, v3
	v_mul_lo_u16 v3, v18, 12
	v_and_b32_e32 v17, 0xffff, v17
	v_sub_nc_u16 v5, v32, v5
	s_delay_alu instid0(VALU_DEP_4) | instskip(NEXT) | instid1(VALU_DEP_4)
	v_mul_lo_u16 v7, v19, 10
	v_and_b32_e32 v3, 0xfc, v3
	v_and_b32_e32 v19, 0xffff, v19
	v_mul_u32_u24_e32 v37, 40, v17
	v_and_b32_e32 v29, 0xff, v5
	v_sub_nc_u16 v5, v4, v7
	v_add_co_u32 v3, s2, s6, v3
	s_wait_alu 0xf1ff
	v_add_co_ci_u32_e64 v4, null, s7, 0, s2
	s_delay_alu instid0(VALU_DEP_3)
	v_and_b32_e32 v24, 0xff, v5
	v_mul_i32_i24_e32 v12, 12, v15
	v_mad_co_u64_u32 v[6:7], null, v29, 12, s[6:7]
	global_load_b96 v[3:5], v[3:4], off
	v_mad_co_u64_u32 v[20:21], null, v24, 12, s[6:7]
	v_add_co_u32 v1, vcc_lo, s6, v12
	s_wait_alu 0xfffd
	v_add_co_ci_u32_e32 v2, vcc_lo, s7, v2, vcc_lo
	v_cmp_lt_u32_e32 vcc_lo, 9, v83
	v_add_nc_u32_e32 v29, v37, v29
	s_add_nc_u64 s[2:3], s[4:5], 0x500
	s_clause 0x3
	global_load_b96 v[0:2], v[1:2], off
	global_load_b96 v[12:14], v[6:7], off
	;; [unrolled: 1-line block ×4, first 2 shown]
	s_wait_alu 0xfffd
	v_cndmask_b32_e64 v20, 0, 40, vcc_lo
	v_and_b32_e32 v21, 0xffff, v22
	v_cmp_gt_u64_e32 vcc_lo, 40, v[32:33]
	v_add_lshl_u32 v100, v35, v29, 2
	s_delay_alu instid0(VALU_DEP_4) | instskip(NEXT) | instid1(VALU_DEP_4)
	v_add_nc_u32_e32 v15, v15, v20
	v_mul_u32_u24_e32 v20, 40, v21
	v_mad_co_u64_u32 v[21:22], null, v83, 12, s[6:7]
	s_wait_alu 0xfffd
	v_cndmask_b32_e32 v44, v25, v32, vcc_lo
	v_add_lshl_u32 v96, v35, v15, 2
	v_mul_u32_u24_e32 v15, 40, v19
	v_add_nc_u32_e32 v18, v20, v23
	s_delay_alu instid0(VALU_DEP_4) | instskip(NEXT) | instid1(VALU_DEP_3)
	v_mul_i32_i24_e32 v45, 12, v44
	v_add_nc_u32_e32 v36, v15, v24
	s_delay_alu instid0(VALU_DEP_3)
	v_add_lshl_u32 v97, v35, v18, 2
	ds_load_2addr_b32 v[15:16], v60 offset0:64 offset1:80
	ds_load_2addr_b32 v[17:18], v60 offset0:160 offset1:176
	;; [unrolled: 1-line block ×3, first 2 shown]
	ds_load_2addr_b32 v[23:24], v60 offset1:16
	ds_load_2addr_b32 v[25:26], v60 offset0:96 offset1:112
	ds_load_2addr_b32 v[27:28], v93 offset1:16
	v_add_lshl_u32 v99, v35, v36, 2
	ds_load_2addr_b32 v[36:37], v60 offset0:192 offset1:208
	ds_load_2addr_b32 v[38:39], v60 offset0:32 offset1:48
	ds_load_2addr_b32 v[40:41], v60 offset0:128 offset1:144
	ds_load_2addr_b32 v[42:43], v93 offset0:32 offset1:48
	global_wb scope:SCOPE_SE
	s_wait_loadcnt_dscnt 0x0
	s_barrier_signal -1
	s_barrier_wait -1
	global_inv scope:SCOPE_SE
	v_lshrrev_b32_e32 v29, 16, v16
	v_lshrrev_b32_e32 v46, 16, v17
	;; [unrolled: 1-line block ×23, first 2 shown]
	s_delay_alu instid0(VALU_DEP_3) | instskip(SKIP_1) | instid1(VALU_DEP_4)
	v_mul_f16_e64 v137, v101, v126
	v_mul_f16_e64 v139, v18, v126
	;; [unrolled: 1-line block ×4, first 2 shown]
	v_lshrrev_b32_e32 v118, 16, v12
	v_lshrrev_b32_e32 v103, 16, v0
	;; [unrolled: 1-line block ×12, first 2 shown]
	v_mul_f16_e64 v131, v16, v103
	v_mul_f16_e64 v132, v17, v104
	;; [unrolled: 1-line block ×26, first 2 shown]
	v_fma_f16 v17, v17, v1, -v135
	v_fmac_f16_e64 v131, v29, v0
	v_fmac_f16_e64 v132, v46, v1
	;; [unrolled: 1-line block ×3, first 2 shown]
	v_fma_f16 v16, v16, v0, -v133
	v_fma_f16 v20, v20, v2, -v136
	;; [unrolled: 1-line block ×3, first 2 shown]
	v_fmac_f16_e64 v139, v101, v4
	v_fmac_f16_e64 v140, v114, v3
	;; [unrolled: 1-line block ×3, first 2 shown]
	v_fma_f16 v25, v25, v3, -v141
	v_fma_f16 v27, v27, v5, -v143
	;; [unrolled: 1-line block ×4, first 2 shown]
	v_fmac_f16_e64 v145, v116, v12
	v_fmac_f16_e64 v147, v117, v14
	v_fmac_f16_e64 v148, v119, v13
	v_fma_f16 v29, v36, v13, -v149
	v_fma_f16 v36, v37, v10, -v150
	v_fmac_f16_e64 v151, v121, v10
	v_fma_f16 v37, v40, v9, -v153
	v_fma_f16 v40, v42, v11, -v155
	;; [unrolled: 1-line block ×5, first 2 shown]
	v_fmac_f16_e64 v157, v127, v6
	v_fmac_f16_e64 v159, v128, v7
	;; [unrolled: 1-line block ×5, first 2 shown]
	v_sub_f16_e32 v17, v23, v17
	v_sub_f16_e64 v43, v92, v132
	v_sub_f16_e32 v20, v16, v20
	v_sub_f16_e64 v46, v131, v134
	v_sub_f16_e32 v18, v24, v18
	v_sub_f16_e32 v27, v25, v27
	v_sub_f16_e64 v47, v140, v142
	v_sub_f16_e64 v101, v102, v139
	v_sub_f16_e32 v28, v26, v28
	v_sub_f16_e64 v114, v145, v147
	v_sub_f16_e64 v115, v120, v148
	v_sub_f16_e32 v29, v38, v29
	v_sub_f16_e32 v40, v37, v40
	v_sub_f16_e64 v117, v122, v151
	v_sub_f16_e32 v19, v15, v19
	v_sub_f16_e32 v42, v41, v42
	v_sub_f16_e64 v119, v157, v161
	v_sub_f16_e64 v121, v130, v159
	v_sub_f16_e32 v36, v39, v36
	v_sub_f16_e64 v116, v152, v154
	v_fma_f16 v92, v92, 2.0, -v43
	v_fma_f16 v16, v16, 2.0, -v20
	;; [unrolled: 1-line block ×4, first 2 shown]
	v_sub_f16_e32 v46, v17, v46
	v_add_f16_e32 v20, v43, v20
	v_fma_f16 v24, v24, 2.0, -v18
	v_fma_f16 v25, v25, 2.0, -v27
	;; [unrolled: 1-line block ×4, first 2 shown]
	v_sub_f16_e32 v47, v18, v47
	v_add_f16_e32 v27, v101, v27
	v_fma_f16 v26, v26, 2.0, -v28
	v_fma_f16 v127, v145, 2.0, -v114
	;; [unrolled: 1-line block ×4, first 2 shown]
	v_add_f16_e32 v28, v115, v28
	v_sub_f16_e32 v114, v29, v114
	v_fma_f16 v37, v37, 2.0, -v40
	v_add_f16_e32 v40, v117, v40
	v_fma_f16 v15, v15, 2.0, -v19
	v_fma_f16 v41, v41, 2.0, -v42
	;; [unrolled: 1-line block ×6, first 2 shown]
	v_sub_f16_e32 v116, v36, v116
	v_fma_f16 v122, v122, 2.0, -v117
	v_sub_f16_e32 v119, v19, v119
	v_add_f16_e32 v42, v121, v42
	v_sub_f16_e32 v16, v23, v16
	v_sub_f16_e32 v124, v92, v124
	v_pack_b32_f16 v131, v46, v20
	v_fma_f16 v17, v17, 2.0, -v46
	v_fma_f16 v20, v43, 2.0, -v20
	v_sub_f16_e32 v25, v24, v25
	v_sub_f16_e32 v46, v102, v125
	v_fma_f16 v18, v18, 2.0, -v47
	v_fma_f16 v43, v101, 2.0, -v27
	v_sub_f16_e32 v26, v38, v26
	v_sub_f16_e32 v101, v120, v127
	v_pack_b32_f16 v27, v47, v27
	v_fma_f16 v47, v115, 2.0, -v28
	v_fma_f16 v29, v29, 2.0, -v114
	v_pack_b32_f16 v28, v114, v28
	v_fma_f16 v114, v117, 2.0, -v40
	v_sub_f16_e32 v41, v15, v41
	v_sub_f16_e64 v117, v130, v129
	v_fma_f16 v36, v36, 2.0, -v116
	v_sub_f16_e32 v37, v39, v37
	v_sub_f16_e64 v115, v122, v128
	v_pack_b32_f16 v40, v116, v40
	v_fma_f16 v19, v19, 2.0, -v119
	v_fma_f16 v116, v121, 2.0, -v42
	v_pack_b32_f16 v42, v119, v42
	v_pack_b32_f16 v119, v16, v124
	v_fma_f16 v16, v23, 2.0, -v16
	v_fma_f16 v23, v92, 2.0, -v124
	v_pack_b32_f16 v17, v17, v20
	v_fma_f16 v20, v24, 2.0, -v25
	v_fma_f16 v24, v102, 2.0, -v46
	;; [unrolled: 3-line block ×5, first 2 shown]
	v_pack_b32_f16 v16, v16, v23
	v_pack_b32_f16 v20, v20, v24
	;; [unrolled: 1-line block ×9, first 2 shown]
	ds_store_2addr_b32 v96, v119, v131 offset0:20 offset1:30
	v_pack_b32_f16 v24, v39, v46
	ds_store_2addr_b32 v96, v16, v17 offset1:10
	ds_store_2addr_b32 v98, v20, v18 offset1:10
	ds_store_2addr_b32 v98, v25, v27 offset0:20 offset1:30
	ds_store_2addr_b32 v100, v23, v29 offset1:10
	ds_store_2addr_b32 v100, v26, v28 offset0:20 offset1:30
	;; [unrolled: 2-line block ×4, first 2 shown]
	v_mul_hi_i32_i24_e32 v15, 12, v44
	v_add_co_u32 v23, vcc_lo, s6, v45
	global_wb scope:SCOPE_SE
	s_wait_dscnt 0x0
	s_barrier_signal -1
	s_wait_alu 0xfffd
	v_add_co_ci_u32_e32 v24, vcc_lo, s7, v15, vcc_lo
	s_barrier_wait -1
	global_inv scope:SCOPE_SE
	s_clause 0x4
	global_load_b96 v[15:17], v[21:22], off offset:120
	global_load_b96 v[18:20], v[21:22], off offset:312
	;; [unrolled: 1-line block ×5, first 2 shown]
	v_cmp_lt_u64_e32 vcc_lo, 39, v[32:33]
	ds_load_2addr_b32 v[36:37], v60 offset0:160 offset1:176
	ds_load_2addr_b32 v[32:33], v60 offset0:224 offset1:240
	;; [unrolled: 1-line block ×3, first 2 shown]
	ds_load_2addr_b32 v[40:41], v93 offset1:16
	v_add_nc_u32_e32 v101, 0x200, v60
	s_wait_alu 0xfffd
	v_cndmask_b32_e64 v42, 0, 0xa0, vcc_lo
	s_delay_alu instid0(VALU_DEP_1)
	v_add_nc_u32_e32 v46, v42, v44
	ds_load_2addr_b32 v[42:43], v60 offset0:192 offset1:208
	ds_load_2addr_b32 v[44:45], v60 offset0:128 offset1:144
	v_add_lshl_u32 v102, v35, v46, 2
	ds_load_2addr_b32 v[46:47], v93 offset0:32 offset1:48
	ds_load_2addr_b32 v[114:115], v60 offset1:16
	ds_load_2addr_b32 v[116:117], v60 offset0:32 offset1:48
	ds_load_2addr_b32 v[119:120], v60 offset0:64 offset1:80
	global_wb scope:SCOPE_SE
	s_wait_loadcnt_dscnt 0x0
	s_barrier_signal -1
	v_lshrrev_b32_e32 v121, 16, v33
	v_lshrrev_b32_e32 v35, 16, v36
	;; [unrolled: 1-line block ×8, first 2 shown]
	s_barrier_wait -1
	global_inv scope:SCOPE_SE
	v_lshrrev_b32_e32 v144, 16, v42
	v_lshrrev_b32_e32 v145, 16, v43
	;; [unrolled: 1-line block ×20, first 2 shown]
	v_mul_f16_e64 v157, v35, v124
	v_lshrrev_b32_e32 v136, 16, v27
	v_lshrrev_b32_e32 v137, 16, v29
	;; [unrolled: 1-line block ×7, first 2 shown]
	v_mul_f16_e64 v158, v92, v135
	v_mul_f16_e64 v159, v36, v124
	;; [unrolled: 1-line block ×12, first 2 shown]
	v_fma_f16 v36, v36, v16, -v157
	v_mul_f16_e64 v157, v155, v127
	v_mul_f16_e64 v167, v142, v136
	;; [unrolled: 1-line block ×17, first 2 shown]
	v_fma_f16 v37, v37, v19, -v158
	v_fma_f16 v38, v38, v18, -v164
	v_fma_f16 v40, v40, v20, -v166
	v_fma_f16 v33, v33, v17, -v162
	v_fmac_f16_e64 v159, v35, v16
	v_fmac_f16_e64 v160, v92, v19
	;; [unrolled: 1-line block ×5, first 2 shown]
	v_fma_f16 v35, v46, v26, -v181
	v_fma_f16 v46, v47, v23, -v182
	v_fmac_f16_e64 v185, v155, v15
	v_fma_f16 v47, v120, v15, -v157
	v_fma_f16 v39, v39, v27, -v167
	;; [unrolled: 1-line block ×4, first 2 shown]
	v_fmac_f16_e64 v168, v142, v27
	v_fmac_f16_e64 v170, v143, v29
	v_fmac_f16_e64 v171, v144, v28
	v_fma_f16 v43, v43, v25, -v173
	v_fma_f16 v44, v44, v24, -v175
	;; [unrolled: 1-line block ×4, first 2 shown]
	v_fmac_f16_e64 v177, v146, v24
	v_fmac_f16_e64 v174, v145, v25
	;; [unrolled: 1-line block ×6, first 2 shown]
	v_sub_f16_e32 v36, v114, v36
	v_sub_f16_e32 v37, v115, v37
	;; [unrolled: 1-line block ×3, first 2 shown]
	v_sub_f16_e64 v92, v185, v161
	v_sub_f16_e64 v120, v151, v159
	v_sub_f16_e32 v40, v38, v40
	v_sub_f16_e64 v121, v163, v165
	v_sub_f16_e64 v122, v152, v160
	v_sub_f16_e32 v42, v116, v42
	v_sub_f16_e32 v41, v39, v41
	v_sub_f16_e64 v141, v168, v170
	v_sub_f16_e64 v142, v153, v171
	v_sub_f16_e32 v43, v117, v43
	v_sub_f16_e32 v32, v119, v32
	v_sub_f16_e64 v143, v154, v174
	v_sub_f16_e32 v35, v44, v35
	v_sub_f16_e64 v144, v177, v183
	v_sub_f16_e64 v145, v156, v180
	v_sub_f16_e32 v46, v45, v46
	v_sub_f16_e64 v146, v179, v184
	v_fma_f16 v114, v114, 2.0, -v36
	v_fma_f16 v115, v115, 2.0, -v37
	;; [unrolled: 1-line block ×4, first 2 shown]
	v_sub_f16_e32 v92, v36, v92
	v_add_f16_e32 v33, v120, v33
	v_fma_f16 v148, v151, 2.0, -v120
	v_fma_f16 v38, v38, 2.0, -v40
	;; [unrolled: 1-line block ×3, first 2 shown]
	v_sub_f16_e32 v121, v37, v121
	v_add_f16_e32 v40, v122, v40
	v_fma_f16 v150, v152, 2.0, -v122
	v_fma_f16 v116, v116, 2.0, -v42
	;; [unrolled: 1-line block ×7, first 2 shown]
	v_add_f16_e64 v41, v142, v41
	v_sub_f16_e64 v141, v42, v141
	v_fma_f16 v153, v154, 2.0, -v143
	v_fma_f16 v44, v44, 2.0, -v35
	;; [unrolled: 1-line block ×8, first 2 shown]
	v_pack_b32_f16 v33, v92, v33
	v_fma_f16 v37, v37, 2.0, -v121
	v_fma_f16 v92, v122, 2.0, -v40
	v_pack_b32_f16 v40, v121, v40
	v_sub_f16_e32 v47, v114, v47
	v_sub_f16_e64 v121, v148, v147
	v_sub_f16_e32 v38, v115, v38
	v_sub_f16_e64 v122, v150, v149
	;; [unrolled: 2-line block ×3, first 2 shown]
	v_sub_f16_e64 v144, v43, v144
	v_add_f16_e64 v35, v143, v35
	v_sub_f16_e64 v146, v32, v146
	v_add_f16_e64 v46, v145, v46
	v_fma_f16 v142, v142, 2.0, -v41
	v_fma_f16 v42, v42, 2.0, -v141
	v_pack_b32_f16 v41, v141, v41
	v_sub_f16_e32 v44, v117, v44
	v_sub_f16_e64 v141, v153, v154
	v_sub_f16_e32 v45, v119, v45
	v_sub_f16_e64 v149, v155, v156
	v_pack_b32_f16 v36, v36, v120
	v_fma_f16 v114, v114, 2.0, -v47
	v_fma_f16 v120, v148, 2.0, -v121
	v_pack_b32_f16 v47, v47, v121
	v_fma_f16 v115, v115, 2.0, -v38
	v_fma_f16 v121, v150, 2.0, -v122
	;; [unrolled: 3-line block ×3, first 2 shown]
	v_fma_f16 v43, v43, 2.0, -v144
	v_fma_f16 v143, v143, 2.0, -v35
	;; [unrolled: 1-line block ×4, first 2 shown]
	v_pack_b32_f16 v38, v38, v122
	v_pack_b32_f16 v42, v42, v142
	v_fma_f16 v117, v117, 2.0, -v44
	v_fma_f16 v122, v153, 2.0, -v141
	;; [unrolled: 1-line block ×4, first 2 shown]
	v_pack_b32_f16 v114, v114, v120
	v_pack_b32_f16 v115, v115, v121
	ds_store_b32 v60, v36 offset:160
	ds_store_b32 v60, v33 offset:480
	ds_store_b32 v60, v47 offset:320
	v_pack_b32_f16 v33, v92, v116
	v_pack_b32_f16 v35, v144, v35
	;; [unrolled: 1-line block ×10, first 2 shown]
	ds_store_2addr_b32 v60, v114, v115 offset1:16
	ds_store_b32 v60, v37 offset:224
	ds_store_b32 v60, v38 offset:384
	;; [unrolled: 1-line block ×3, first 2 shown]
	ds_store_2addr_b32 v102, v33, v42 offset1:40
	ds_store_2addr_b32 v102, v39, v41 offset0:80 offset1:120
	ds_store_2addr_b32 v60, v36, v47 offset0:168 offset1:184
	ds_store_2addr_b32 v60, v43, v32 offset0:208 offset1:224
	ds_store_2addr_b32 v101, v44, v45 offset0:120 offset1:136
	ds_store_2addr_b32 v93, v35, v46 offset0:32 offset1:48
	global_wb scope:SCOPE_SE
	s_wait_dscnt 0x0
	s_barrier_signal -1
	s_barrier_wait -1
	global_inv scope:SCOPE_SE
	s_clause 0x9
	global_load_b32 v114, v34, s[6:7] offset:600
	global_load_b32 v115, v34, s[6:7] offset:664
	global_load_b32 v116, v34, s[6:7] offset:728
	global_load_b32 v117, v34, s[6:7] offset:792
	global_load_b32 v119, v34, s[6:7] offset:856
	global_load_b32 v120, v34, s[6:7] offset:920
	global_load_b32 v121, v34, s[6:7] offset:984
	global_load_b32 v122, v34, s[6:7] offset:1048
	global_load_b32 v141, v34, s[6:7] offset:1112
	global_load_b32 v142, v34, s[6:7] offset:1176
	ds_load_2addr_b32 v[32:33], v60 offset0:160 offset1:176
	ds_load_2addr_b32 v[35:36], v60 offset0:192 offset1:208
	ds_load_2addr_b32 v[37:38], v60 offset0:224 offset1:240
	ds_load_2addr_b32 v[39:40], v93 offset1:16
	ds_load_2addr_b32 v[41:42], v93 offset0:32 offset1:48
	ds_load_2addr_b32 v[43:44], v60 offset1:16
	ds_load_2addr_b32 v[45:46], v60 offset0:32 offset1:48
	ds_load_2addr_b32 v[153:154], v60 offset0:64 offset1:80
	;; [unrolled: 1-line block ×4, first 2 shown]
	v_add_nc_u32_e32 v92, 0x200, v58
	s_wait_dscnt 0x9
	v_lshrrev_b32_e32 v47, 16, v32
	v_lshrrev_b32_e32 v159, 16, v33
	s_wait_dscnt 0x8
	v_lshrrev_b32_e32 v160, 16, v35
	s_wait_dscnt 0x7
	v_lshrrev_b32_e32 v162, 16, v37
	v_lshrrev_b32_e32 v163, 16, v38
	;; [unrolled: 1-line block ×3, first 2 shown]
	s_wait_dscnt 0x6
	v_lshrrev_b32_e32 v164, 16, v39
	v_lshrrev_b32_e32 v165, 16, v40
	s_wait_dscnt 0x5
	v_lshrrev_b32_e32 v166, 16, v41
	v_lshrrev_b32_e32 v167, 16, v42
	;; [unrolled: 3-line block ×5, first 2 shown]
	s_wait_dscnt 0x1
	v_lshrrev_b32_e32 v174, 16, v155
	s_wait_loadcnt 0x9
	v_lshrrev_b32_e32 v152, 16, v114
	s_wait_loadcnt 0x8
	;; [unrolled: 2-line block ×10, first 2 shown]
	v_lshrrev_b32_e32 v143, 16, v142
	v_mul_f16_e64 v175, v47, v152
	v_mul_f16_e64 v176, v159, v151
	;; [unrolled: 1-line block ×10, first 2 shown]
	v_fma_f16 v32, v32, v114, -v175
	v_fma_f16 v33, v33, v115, -v176
	v_mul_f16_e64 v175, v164, v146
	v_mul_f16_e64 v176, v38, v147
	v_fma_f16 v35, v35, v116, -v179
	v_mul_f16_e64 v179, v165, v145
	v_fma_f16 v37, v37, v119, -v183
	v_fma_f16 v38, v38, v120, -v184
	v_mul_f16_e64 v183, v166, v144
	v_mul_f16_e64 v184, v167, v143
	;; [unrolled: 1-line block ×3, first 2 shown]
	v_fma_f16 v36, v36, v117, -v180
	v_mul_f16_e64 v180, v39, v146
	v_fma_f16 v39, v39, v121, -v175
	v_fma_f16 v175, v40, v122, -v179
	v_mul_f16_e64 v40, v40, v145
	v_mul_f16_e64 v179, v41, v144
	v_fma_f16 v41, v41, v141, -v183
	v_fma_f16 v183, v42, v142, -v184
	v_mul_f16_e64 v42, v42, v143
	v_fmac_f16_e64 v177, v47, v114
	v_fmac_f16_e64 v178, v159, v115
	;; [unrolled: 1-line block ×3, first 2 shown]
	v_lshrrev_b32_e32 v184, 16, v156
	s_wait_dscnt 0x0
	v_lshrrev_b32_e32 v47, 16, v157
	v_lshrrev_b32_e32 v159, 16, v158
	v_fmac_f16_e64 v182, v161, v117
	v_fmac_f16_e64 v185, v162, v119
	;; [unrolled: 1-line block ×7, first 2 shown]
	v_sub_f16_e32 v32, v43, v32
	v_sub_f16_e64 v160, v168, v177
	v_sub_f16_e32 v33, v44, v33
	v_sub_f16_e64 v161, v169, v178
	;; [unrolled: 2-line block ×4, first 2 shown]
	v_sub_f16_e64 v164, v172, v185
	v_sub_f16_e64 v37, v153, v37
	;; [unrolled: 1-line block ×12, first 2 shown]
	v_fma_f16 v43, v43, 2.0, -v32
	v_fma_f16 v168, v168, 2.0, -v160
	;; [unrolled: 1-line block ×3, first 2 shown]
	v_pack_b32_f16 v32, v32, v160
	v_fma_f16 v160, v169, 2.0, -v161
	v_fma_f16 v45, v45, 2.0, -v35
	v_pack_b32_f16 v33, v33, v161
	v_fma_f16 v161, v170, 2.0, -v162
	v_fma_f16 v46, v46, 2.0, -v36
	v_pack_b32_f16 v35, v35, v162
	v_fma_f16 v162, v171, 2.0, -v163
	v_pack_b32_f16 v36, v36, v163
	;; [unrolled: 2-line block ×3, first 2 shown]
	v_fma_f16 v37, v153, 2.0, -v37
	v_fma_f16 v153, v154, 2.0, -v38
	;; [unrolled: 1-line block ×3, first 2 shown]
	v_pack_b32_f16 v38, v38, v165
	v_fma_f16 v165, v174, 2.0, -v166
	v_pack_b32_f16 v166, v39, v166
	v_fma_f16 v39, v155, 2.0, -v39
	v_fma_f16 v155, v156, 2.0, -v167
	;; [unrolled: 1-line block ×3, first 2 shown]
	v_pack_b32_f16 v40, v167, v40
	v_fma_f16 v47, v47, 2.0, -v175
	v_pack_b32_f16 v167, v41, v175
	v_fma_f16 v41, v157, 2.0, -v41
	v_fma_f16 v157, v158, 2.0, -v176
	v_fma_f16 v158, v159, 2.0, -v42
	v_pack_b32_f16 v43, v43, v168
	v_pack_b32_f16 v44, v44, v160
	;; [unrolled: 1-line block ×11, first 2 shown]
	ds_store_b32 v60, v43
	ds_store_b32 v58, v32 offset:640
	ds_store_b32 v60, v44 offset:64
	;; [unrolled: 1-line block ×6, first 2 shown]
	ds_store_2addr_b32 v58, v36, v164 offset0:208 offset1:224
	ds_store_2addr_b32 v58, v37, v153 offset0:64 offset1:80
	;; [unrolled: 1-line block ×6, first 2 shown]
	ds_store_b32 v58, v42 offset:1216
	global_wb scope:SCOPE_SE
	s_wait_dscnt 0x0
	s_barrier_signal -1
	s_barrier_wait -1
	global_inv scope:SCOPE_SE
	s_clause 0x13
	global_load_b32 v32, v34, s[4:5] offset:1280
	global_load_b32 v33, v34, s[2:3] offset:128
	;; [unrolled: 1-line block ×20, first 2 shown]
	ds_load_b32 v34, v60
	ds_load_b32 v35, v60 offset:128
	s_wait_dscnt 0x1
	v_lshrrev_b32_e32 v159, 16, v34
	s_wait_dscnt 0x0
	v_lshrrev_b32_e32 v161, 16, v35
	s_wait_loadcnt 0x12
	v_lshrrev_b32_e32 v162, 16, v33
	s_delay_alu instid0(VALU_DEP_1) | instskip(SKIP_1) | instid1(VALU_DEP_1)
	v_mul_f16_e64 v164, v161, v162
	v_mul_f16_e64 v162, v35, v162
	v_fmac_f16_e64 v162, v161, v33
	s_wait_loadcnt 0x10
	v_lshrrev_b32_e32 v161, 16, v37
	v_lshrrev_b32_e32 v160, 16, v32
	s_delay_alu instid0(VALU_DEP_1) | instskip(SKIP_1) | instid1(VALU_DEP_2)
	v_mul_f16_e64 v163, v159, v160
	v_mul_f16_e64 v160, v34, v160
	v_fma_f16 v34, v34, v32, -v163
	s_delay_alu instid0(VALU_DEP_2) | instskip(SKIP_3) | instid1(VALU_DEP_3)
	v_fmac_f16_e64 v160, v159, v32
	v_fma_f16 v32, v35, v33, -v164
	s_wait_loadcnt 0xe
	v_lshrrev_b32_e32 v163, 16, v39
	v_pack_b32_f16 v33, v34, v160
	s_delay_alu instid0(VALU_DEP_3)
	v_pack_b32_f16 v159, v32, v162
	v_lshrrev_b32_e32 v160, 16, v36
	v_lshrrev_b32_e32 v162, 16, v38
	ds_store_b32 v60, v33
	ds_load_2addr_b32 v[32:33], v60 offset0:64 offset1:96
	ds_load_2addr_b32 v[34:35], v60 offset0:128 offset1:160
	s_wait_dscnt 0x1
	v_lshrrev_b32_e32 v164, 16, v32
	v_lshrrev_b32_e32 v166, 16, v33
	s_wait_dscnt 0x0
	v_lshrrev_b32_e32 v168, 16, v34
	v_lshrrev_b32_e32 v170, 16, v35
	v_mul_f16_e64 v165, v32, v160
	v_mul_f16_e64 v167, v33, v161
	;; [unrolled: 1-line block ×8, first 2 shown]
	v_fmac_f16_e64 v165, v164, v36
	v_fmac_f16_e64 v167, v166, v37
	v_fma_f16 v32, v32, v36, -v160
	v_fma_f16 v33, v33, v37, -v161
	v_fmac_f16_e64 v169, v168, v38
	v_fmac_f16_e64 v171, v170, v39
	v_fma_f16 v34, v34, v38, -v162
	v_fma_f16 v35, v35, v39, -v163
	v_pack_b32_f16 v32, v32, v165
	v_pack_b32_f16 v33, v33, v167
	s_wait_loadcnt 0xd
	v_lshrrev_b32_e32 v36, 16, v40
	v_pack_b32_f16 v34, v34, v169
	v_pack_b32_f16 v35, v35, v171
	ds_store_b32 v60, v159 offset:128
	ds_store_2addr_b32 v60, v32, v33 offset0:64 offset1:96
	ds_store_2addr_b32 v60, v34, v35 offset0:128 offset1:160
	ds_load_b32 v32, v58 offset:768
	ds_load_b32 v33, v58 offset:896
	;; [unrolled: 1-line block ×4, first 2 shown]
	s_wait_loadcnt 0xc
	v_lshrrev_b32_e32 v37, 16, v41
	s_wait_loadcnt 0xb
	v_lshrrev_b32_e32 v38, 16, v42
	s_wait_loadcnt 0xa
	v_lshrrev_b32_e32 v39, 16, v43
	s_wait_dscnt 0x3
	v_lshrrev_b32_e32 v159, 16, v32
	s_wait_dscnt 0x2
	v_lshrrev_b32_e32 v161, 16, v33
	;; [unrolled: 2-line block ×4, first 2 shown]
	v_mul_f16_e64 v160, v32, v36
	v_mul_f16_e64 v36, v159, v36
	;; [unrolled: 1-line block ×8, first 2 shown]
	v_fmac_f16_e64 v160, v159, v40
	v_fma_f16 v32, v32, v40, -v36
	v_fmac_f16_e64 v162, v161, v41
	v_fma_f16 v33, v33, v41, -v37
	v_fmac_f16_e64 v164, v163, v42
	v_fma_f16 v34, v34, v42, -v38
	v_fmac_f16_e64 v166, v165, v43
	v_fma_f16 v35, v35, v43, -v39
	v_pack_b32_f16 v32, v32, v160
	v_pack_b32_f16 v33, v33, v162
	;; [unrolled: 1-line block ×3, first 2 shown]
	s_delay_alu instid0(VALU_DEP_4)
	v_pack_b32_f16 v35, v35, v166
	ds_store_b32 v58, v32 offset:768
	ds_store_b32 v58, v33 offset:896
	;; [unrolled: 1-line block ×4, first 2 shown]
	ds_load_b32 v32, v60 offset:64
	ds_load_b32 v33, v60 offset:192
	s_wait_loadcnt 0x6
	v_lshrrev_b32_e32 v34, 16, v47
	v_lshrrev_b32_e32 v35, 16, v46
	s_wait_dscnt 0x1
	v_lshrrev_b32_e32 v36, 16, v32
	s_wait_dscnt 0x0
	v_lshrrev_b32_e32 v37, 16, v33
	v_mul_f16_e32 v38, v32, v34
	v_mul_f16_e32 v39, v33, v35
	;; [unrolled: 1-line block ×3, first 2 shown]
	s_delay_alu instid0(VALU_DEP_4) | instskip(NEXT) | instid1(VALU_DEP_4)
	v_mul_f16_e32 v35, v37, v35
	v_fmac_f16_e32 v38, v36, v47
	s_delay_alu instid0(VALU_DEP_4)
	v_fmac_f16_e32 v39, v37, v46
	v_lshrrev_b32_e32 v36, 16, v44
	v_fma_f16 v32, v32, v47, -v34
	v_fma_f16 v33, v33, v46, -v35
	v_lshrrev_b32_e32 v35, 16, v45
	s_wait_loadcnt 0x2
	v_lshrrev_b32_e32 v37, 16, v156
	v_pack_b32_f16 v32, v32, v38
	v_pack_b32_f16 v33, v33, v39
	ds_store_b32 v60, v32 offset:64
	ds_store_b32 v60, v33 offset:192
	ds_load_2addr_b32 v[32:33], v58 offset0:80 offset1:112
	ds_load_b32 v34, v58 offset:576
	s_wait_dscnt 0x1
	v_lshrrev_b32_e32 v38, 16, v32
	v_lshrrev_b32_e32 v40, 16, v33
	s_wait_dscnt 0x0
	v_lshrrev_b32_e32 v42, 16, v34
	v_mul_f16_e32 v39, v32, v35
	v_mul_f16_e32 v41, v33, v36
	;; [unrolled: 1-line block ×6, first 2 shown]
	v_fmac_f16_e32 v39, v38, v45
	v_fmac_f16_e32 v41, v40, v44
	v_fma_f16 v32, v32, v45, -v35
	v_fma_f16 v33, v33, v44, -v36
	v_fmac_f16_e64 v43, v42, v156
	v_fma_f16 v34, v34, v156, -v37
	v_lshrrev_b32_e32 v36, 16, v154
	v_pack_b32_f16 v32, v32, v39
	v_pack_b32_f16 v33, v33, v41
	v_lshrrev_b32_e32 v37, 16, v153
	v_pack_b32_f16 v34, v34, v43
	ds_store_2addr_b32 v58, v32, v33 offset0:80 offset1:112
	ds_store_b32 v58, v34 offset:576
	ds_load_b32 v32, v60 offset:704
	v_lshrrev_b32_e32 v33, 16, v155
	s_wait_loadcnt 0x0
	v_lshrrev_b32_e32 v38, 16, v158
	v_lshrrev_b32_e32 v39, 16, v157
	s_wait_dscnt 0x0
	v_lshrrev_b32_e32 v34, 16, v32
	v_mul_f16_e32 v35, v32, v33
	s_delay_alu instid0(VALU_DEP_2) | instskip(NEXT) | instid1(VALU_DEP_2)
	v_mul_f16_e32 v33, v34, v33
	v_fmac_f16_e64 v35, v34, v155
	s_delay_alu instid0(VALU_DEP_2) | instskip(NEXT) | instid1(VALU_DEP_1)
	v_fma_f16 v32, v32, v155, -v33
	v_pack_b32_f16 v32, v32, v35
	ds_store_b32 v60, v32 offset:704
	ds_load_b32 v32, v58 offset:832
	ds_load_b32 v33, v58 offset:960
	;; [unrolled: 1-line block ×4, first 2 shown]
	s_wait_dscnt 0x3
	v_lshrrev_b32_e32 v40, 16, v32
	s_wait_dscnt 0x2
	v_lshrrev_b32_e32 v42, 16, v33
	;; [unrolled: 2-line block ×4, first 2 shown]
	v_mul_f16_e32 v41, v32, v36
	v_mul_f16_e32 v36, v40, v36
	;; [unrolled: 1-line block ×8, first 2 shown]
	v_fmac_f16_e64 v41, v40, v154
	v_fma_f16 v32, v32, v154, -v36
	v_fmac_f16_e64 v43, v42, v153
	v_fma_f16 v33, v33, v153, -v37
	;; [unrolled: 2-line block ×4, first 2 shown]
	v_pack_b32_f16 v32, v32, v41
	v_pack_b32_f16 v33, v33, v43
	;; [unrolled: 1-line block ×3, first 2 shown]
	s_delay_alu instid0(VALU_DEP_4)
	v_pack_b32_f16 v35, v35, v47
	ds_store_b32 v58, v32 offset:832
	ds_store_b32 v58, v33 offset:960
	;; [unrolled: 1-line block ×4, first 2 shown]
	global_wb scope:SCOPE_SE
	s_wait_dscnt 0x0
	s_barrier_signal -1
	s_barrier_wait -1
	global_inv scope:SCOPE_SE
	ds_load_2addr_b32 v[34:35], v58 offset0:144 offset1:192
	ds_load_2addr_b32 v[32:33], v92 offset0:112 offset1:128
	;; [unrolled: 1-line block ×6, first 2 shown]
	ds_load_2addr_b32 v[46:47], v60 offset1:16
	ds_load_2addr_b32 v[42:43], v60 offset0:32 offset1:48
	ds_load_b32 v155, v60 offset:704
	ds_load_b32 v156, v58 offset:1216
	ds_load_2addr_b32 v[153:154], v58 offset0:80 offset1:112
	global_wb scope:SCOPE_SE
	s_wait_dscnt 0x0
	s_barrier_signal -1
	s_barrier_wait -1
	global_inv scope:SCOPE_SE
	v_lshrrev_b32_e32 v162, 16, v35
	v_sub_f16_e64 v157, v35, v33
	v_add_f16_e64 v170, v44, v33
	v_add_f16_e64 v178, v40, v35
	v_sub_f16_e64 v160, v41, v45
	v_lshrrev_b32_e32 v165, 16, v41
	v_lshrrev_b32_e32 v163, 16, v46
	v_pk_add_f16 v177, v42, v45
	v_lshrrev_b32_e32 v168, 16, v45
	v_add_f16_e64 v171, v45, v37
	v_pk_add_f16 v183, v47, v153
	v_sub_f16_e64 v174, v41, v39
	v_sub_f16_e64 v175, v45, v37
	v_pk_add_f16 v176, v46, v44
	v_sub_f16_e32 v45, v45, v41
	v_add_f16_e64 v179, v41, v39
	v_pk_add_f16 v41, v177, v41
	v_fma_f16 v170, -0.5, v170, v46
	v_fma_f16 v46, -0.5, v178, v46
	v_pk_add_f16 v178, v183, v34
	v_sub_f16_e64 v159, v39, v37
	v_lshrrev_b32_e32 v166, 16, v39
	v_sub_f16_e64 v180, v37, v39
	v_add_f16_e64 v181, v34, v38
	v_add_f16_e64 v182, v153, v36
	v_pk_add_f16 v39, v41, v39
	v_pk_add_f16 v41, v178, v38
	v_sub_f16_e64 v158, v40, v44
	v_lshrrev_b32_e32 v161, 16, v40
	v_lshrrev_b32_e32 v164, 16, v44
	v_lshrrev_b32_e32 v169, 16, v37
	v_sub_f16_e64 v172, v40, v35
	v_sub_f16_e64 v173, v44, v33
	v_sub_f16_e32 v44, v44, v40
	v_lshrrev_b32_e32 v184, 16, v47
	v_lshrrev_b32_e32 v185, 16, v36
	v_pk_add_f16 v40, v176, v40
	v_sub_f16_e64 v176, v36, v38
	v_sub_f16_e64 v177, v38, v36
	v_fma_f16 v181, -0.5, v181, v47
	v_fma_f16 v47, -0.5, v182, v47
	v_sub_f16_e64 v182, v153, v36
	v_add_f16_e64 v183, v154, v156
	v_pk_add_f16 v37, v39, v37
	v_pk_add_f16 v39, v41, v36
	v_add_f16_e64 v36, v155, v32
	v_lshrrev_b32_e32 v167, 16, v42
	v_lshrrev_b32_e32 v41, 16, v43
	v_fma_f16 v171, -0.5, v171, v42
	v_fma_f16 v42, -0.5, v179, v42
	;; [unrolled: 1-line block ×4, first 2 shown]
	v_pk_add_f16 v36, v43, v154
	v_sub_f16_e32 v43, v33, v35
	v_pk_add_f16 v35, v40, v35
	v_lshrrev_b32_e32 v178, 16, v38
	v_sub_f16_e32 v38, v34, v38
	v_sub_f16_e64 v40, v34, v153
	v_lshrrev_b32_e32 v186, 16, v34
	v_sub_f16_e64 v34, v153, v34
	v_sub_f16_e64 v187, v155, v154
	v_lshrrev_b32_e32 v153, 16, v153
	v_lshrrev_b32_e32 v188, 16, v154
	v_sub_f16_e64 v189, v154, v156
	v_sub_f16_e64 v154, v154, v155
	v_pk_add_f16 v36, v36, v155
	v_pk_add_f16 v35, v35, v33
	v_lshrrev_b32_e32 v33, 16, v33
	v_sub_f16_e64 v190, v32, v156
	v_lshrrev_b32_e32 v191, 16, v32
	v_sub_f16_e64 v192, v155, v32
	v_lshrrev_b32_e32 v155, 16, v155
	v_add_f16_e64 v157, v158, v157
	v_add_f16_e64 v158, v160, v159
	v_add_f16_e32 v43, v44, v43
	v_add_f16_e64 v44, v161, v162
	v_sub_f16_e64 v159, v161, v164
	v_sub_f16_e64 v160, v161, v162
	v_sub_f16_e64 v161, v164, v161
	v_add_f16_e64 v193, v164, v33
	v_sub_f16_e64 v164, v164, v33
	v_sub_f16_e64 v194, v162, v33
	v_sub_f16_e64 v33, v33, v162
	;; [unrolled: 4-line block ×4, first 2 shown]
	v_add_f16_e64 v45, v45, v180
	v_add_f16_e64 v40, v40, v177
	;; [unrolled: 1-line block ×4, first 2 shown]
	v_sub_f16_e64 v180, v186, v153
	v_sub_f16_e64 v187, v186, v178
	;; [unrolled: 1-line block ×3, first 2 shown]
	v_add_f16_e64 v190, v153, v185
	v_sub_f16_e64 v153, v153, v185
	v_sub_f16_e64 v199, v178, v185
	;; [unrolled: 1-line block ×3, first 2 shown]
	v_add_f16_e64 v185, v155, v191
	v_add_f16_e64 v33, v161, v33
	;; [unrolled: 1-line block ×3, first 2 shown]
	v_fma_f16 v165, -0.5, v177, v184
	v_add_f16_e64 v178, v186, v178
	v_fma_f16 v177, -0.5, v185, v41
	v_fma_f16 v185, 0x3b9c, v160, v170
	v_fmac_f16_e64 v170, 0xbb9c, v160
	v_fma_f16 v186, 0xbb9c, v164, v46
	v_fmac_f16_e64 v46, 0x3b9c, v164
	v_sub_f16_e64 v201, v155, v191
	v_lshrrev_b32_e32 v202, 16, v156
	v_fmac_f16_e64 v185, 0xb8b4, v164
	v_fmac_f16_e64 v170, 0x38b4, v164
	v_fma_f16 v164, 0x3b9c, v196, v171
	v_fmac_f16_e64 v171, 0xbb9c, v196
	v_fmac_f16_e64 v186, 0xb8b4, v160
	;; [unrolled: 1-line block ×3, first 2 shown]
	v_fma_f16 v160, 0x3b9c, v187, v47
	v_fmac_f16_e64 v47, 0xbb9c, v187
	v_fma_f16 v44, -0.5, v44, v163
	v_fmac_f16_e64 v163, -0.5, v193
	v_sub_f16_e64 v200, v155, v188
	v_sub_f16_e64 v155, v188, v155
	v_add_f16_e64 v203, v188, v202
	v_sub_f16_e64 v188, v188, v202
	v_fmac_f16_e64 v184, -0.5, v190
	v_fma_f16 v190, 0xbb9c, v168, v42
	v_fmac_f16_e64 v42, 0x3b9c, v168
	v_fmac_f16_e64 v164, 0xb8b4, v168
	;; [unrolled: 1-line block ×3, first 2 shown]
	v_fma_f16 v168, 0xbb9c, v153, v181
	v_fmac_f16_e64 v181, 0x3b9c, v153
	v_fmac_f16_e64 v160, 0xb8b4, v153
	v_fmac_f16_e64 v47, 0x38b4, v153
	v_fma_f16 v153, 0x3b9c, v201, v179
	v_fmac_f16_e64 v179, 0xbb9c, v201
	v_sub_f16_e64 v204, v191, v202
	v_sub_f16_e64 v191, v202, v191
	v_fma_f16 v162, -0.5, v162, v167
	v_fmac_f16_e64 v167, -0.5, v197
	v_fmac_f16_e64 v185, 0x34f2, v157
	v_fmac_f16_e64 v170, 0x34f2, v157
	v_fma_f16 v157, 0xbb9c, v172, v163
	v_fmac_f16_e64 v163, 0x3b9c, v172
	v_fmac_f16_e64 v41, -0.5, v203
	v_fmac_f16_e64 v153, 0xb8b4, v188
	v_fmac_f16_e64 v179, 0x38b4, v188
	v_pk_add_f16 v36, v36, v32
	v_sub_f16_e64 v32, v156, v32
	v_add_f16_e64 v155, v155, v191
	v_fma_f16 v191, 0xbb9c, v188, v183
	v_fmac_f16_e64 v168, 0xb8b4, v187
	v_fmac_f16_e64 v181, 0x38b4, v187
	;; [unrolled: 1-line block ×4, first 2 shown]
	v_fma_f16 v158, 0x3b9c, v173, v44
	v_fmac_f16_e64 v44, 0xbb9c, v173
	v_fmac_f16_e64 v157, 0x38b4, v173
	v_fmac_f16_e64 v163, 0xb8b4, v173
	v_fma_f16 v173, 0xbb9c, v174, v167
	v_fmac_f16_e64 v167, 0x3b9c, v174
	v_fma_f16 v187, 0x3b9c, v175, v162
	v_fmac_f16_e64 v162, 0xbb9c, v175
	v_fmac_f16_e64 v160, 0x34f2, v40
	v_fmac_f16_e32 v47, 0x34f2, v40
	v_fma_f16 v40, 0xbb9c, v192, v41
	v_fmac_f16_e64 v41, 0x3b9c, v192
	v_fmac_f16_e64 v153, 0x34f2, v169
	;; [unrolled: 1-line block ×3, first 2 shown]
	v_fma_f16 v169, 0x3b9c, v189, v177
	v_add_f16_e64 v154, v154, v32
	v_fmac_f16_e64 v191, 0xb8b4, v201
	v_fmac_f16_e64 v177, 0xbb9c, v189
	v_add_f16_e64 v34, v34, v176
	v_add_f16_e64 v176, v195, v198
	v_fmac_f16_e64 v190, 0xb8b4, v196
	v_fmac_f16_e64 v42, 0x38b4, v196
	;; [unrolled: 1-line block ×7, first 2 shown]
	v_add_f16_e64 v166, v180, v199
	v_add_f16_e64 v180, v200, v204
	v_fmac_f16_e64 v186, 0x34f2, v43
	v_fmac_f16_e32 v46, 0x34f2, v43
	v_fma_f16 v43, 0xbb9c, v38, v184
	v_fmac_f16_e64 v184, 0x3b9c, v38
	v_fmac_f16_e64 v41, 0xb8b4, v189
	;; [unrolled: 1-line block ×9, first 2 shown]
	v_pk_add_f16 v156, v36, v156
	v_fmac_f16_e64 v190, 0x34f2, v45
	v_fmac_f16_e32 v42, 0x34f2, v45
	v_fma_f16 v45, 0x3b9c, v182, v165
	v_fmac_f16_e64 v165, 0xbb9c, v182
	v_fmac_f16_e64 v167, 0x34f2, v176
	;; [unrolled: 1-line block ×4, first 2 shown]
	v_add_f16_e64 v159, v159, v194
	v_fmac_f16_e64 v162, 0x34f2, v161
	v_fmac_f16_e64 v43, 0x38b4, v182
	;; [unrolled: 1-line block ×7, first 2 shown]
	v_fmac_f16_e32 v44, 0x34f2, v33
	v_mul_f16_e64 v33, 0x38b4, v191
	v_fmac_f16_e64 v177, 0x34f2, v155
	v_pk_add_f16 v32, v35, v37
	v_pk_add_f16 v35, v35, v37 neg_lo:[0,1] neg_hi:[0,1]
	v_fmac_f16_e32 v45, 0x38b4, v38
	v_fmac_f16_e64 v168, 0x34f2, v34
	v_fmac_f16_e64 v165, 0xb8b4, v38
	;; [unrolled: 1-line block ×4, first 2 shown]
	v_pk_add_f16 v36, v39, v156
	v_pk_add_f16 v39, v39, v156 neg_lo:[0,1] neg_hi:[0,1]
	v_mul_f16_e64 v34, 0x38b4, v190
	v_mul_f16_e64 v37, 0xbb9c, v167
	;; [unrolled: 1-line block ×6, first 2 shown]
	v_fmac_f16_e64 v157, 0x34f2, v159
	v_fmac_f16_e64 v163, 0x34f2, v159
	v_mul_f16_e64 v159, 0xb8b4, v162
	v_mul_f16_e64 v161, 0xba79, v162
	v_fmac_f16_e64 v43, 0x34f2, v166
	v_fmac_f16_e64 v184, 0x34f2, v166
	v_mul_f16_e64 v162, 0xbb9c, v41
	v_mul_f16_e32 v41, 0xb4f2, v41
	v_mul_f16_e64 v166, 0xbb9c, v40
	v_mul_f16_e32 v40, 0x34f2, v40
	v_mul_f16_e64 v167, 0xb8b4, v169
	v_fmac_f16_e64 v33, 0x3a79, v169
	v_mul_f16_e64 v169, 0xb8b4, v177
	v_mul_f16_e64 v172, 0xba79, v177
	v_fmac_f16_e64 v45, 0x34f2, v178
	v_fmac_f16_e64 v34, 0x3a79, v187
	;; [unrolled: 1-line block ×17, first 2 shown]
	v_add_f16_e64 v164, v158, v34
	v_sub_f16_e64 v34, v158, v34
	v_sub_f16_e64 v153, v45, v33
	v_add_f16_e64 v158, v45, v33
	v_add_f16_e64 v33, v170, v37
	;; [unrolled: 1-line block ×6, first 2 shown]
	v_sub_f16_e64 v154, v185, v154
	v_sub_f16_e64 v155, v157, v155
	;; [unrolled: 1-line block ×3, first 2 shown]
	v_add_f16_e64 v157, v46, v159
	v_add_f16_e64 v174, v44, v161
	v_sub_f16_e64 v37, v170, v37
	v_sub_f16_e64 v46, v46, v159
	v_sub_f16_e64 v44, v44, v161
	v_sub_f16_e64 v38, v163, v38
	v_add_f16_e64 v159, v47, v162
	v_add_f16_e64 v161, v184, v41
	v_add_f16_e64 v163, v160, v166
	v_add_f16_e64 v170, v43, v40
	v_sub_f16_e64 v175, v168, v167
	v_add_f16_e64 v167, v168, v167
	v_sub_f16_e64 v160, v160, v166
	v_sub_f16_e64 v166, v43, v40
	v_add_f16_e64 v168, v181, v169
	v_add_f16_e64 v176, v165, v172
	v_sub_f16_e64 v162, v47, v162
	v_sub_f16_e64 v169, v181, v169
	;; [unrolled: 1-line block ×4, first 2 shown]
	v_pack_b32_f16 v41, v33, v42
	v_pack_b32_f16 v40, v45, v171
	;; [unrolled: 1-line block ×16, first 2 shown]
	ds_store_2addr_b64 v94, v[32:33], v[40:41] offset1:1
	ds_store_2addr_b64 v94, v[34:35], v[42:43] offset0:2 offset1:3
	ds_store_b64 v94, v[44:45] offset:32
	ds_store_2addr_b64 v95, v[36:37], v[46:47] offset1:1
	ds_store_2addr_b64 v95, v[38:39], v[153:154] offset0:2 offset1:3
	ds_store_b64 v95, v[155:156] offset:32
	global_wb scope:SCOPE_SE
	s_wait_dscnt 0x0
	s_barrier_signal -1
	s_barrier_wait -1
	global_inv scope:SCOPE_SE
	ds_load_2addr_b32 v[32:33], v60 offset0:96 offset1:112
	ds_load_2addr_b32 v[34:35], v60 offset0:160 offset1:176
	ds_load_2addr_b32 v[36:37], v93 offset1:16
	ds_load_2addr_b32 v[38:39], v60 offset0:192 offset1:208
	ds_load_2addr_b32 v[40:41], v60 offset0:128 offset1:144
	;; [unrolled: 1-line block ×5, first 2 shown]
	ds_load_2addr_b32 v[94:95], v60 offset1:16
	ds_load_2addr_b32 v[153:154], v60 offset0:32 offset1:48
	global_wb scope:SCOPE_SE
	s_wait_dscnt 0x0
	s_barrier_signal -1
	s_barrier_wait -1
	global_inv scope:SCOPE_SE
	v_lshrrev_b32_e32 v155, 16, v32
	v_lshrrev_b32_e32 v179, 16, v34
	;; [unrolled: 1-line block ×4, first 2 shown]
	v_mul_f16_e64 v156, v138, v32
	v_mul_f16_e64 v158, v126, v35
	v_lshrrev_b32_e32 v181, 16, v45
	v_lshrrev_b32_e32 v183, 16, v47
	v_mul_f16_e64 v160, v123, v36
	v_lshrrev_b32_e32 v161, 16, v33
	v_lshrrev_b32_e32 v163, 16, v37
	;; [unrolled: 1-line block ×3, first 2 shown]
	v_mul_f16_e64 v162, v118, v33
	v_mul_f16_e64 v165, v112, v38
	;; [unrolled: 1-line block ×3, first 2 shown]
	v_lshrrev_b32_e32 v167, 16, v39
	v_lshrrev_b32_e32 v169, 16, v40
	;; [unrolled: 1-line block ×3, first 2 shown]
	v_mul_f16_e64 v168, v111, v39
	v_mul_f16_e64 v170, v110, v40
	v_mul_f16_e64 v172, v108, v42
	v_lshrrev_b32_e32 v173, 16, v41
	v_mul_f16_e64 v174, v107, v41
	v_lshrrev_b32_e32 v175, 16, v43
	v_lshrrev_b32_e32 v177, 16, v44
	v_mul_f16_e64 v180, v104, v34
	v_mul_f16_e64 v182, v105, v45
	;; [unrolled: 1-line block ×9, first 2 shown]
	v_fma_f16 v155, v3, v155, -v156
	v_lshrrev_b32_e32 v156, 16, v95
	v_fma_f16 v157, v4, v157, -v158
	v_fma_f16 v159, v5, v159, -v160
	v_mul_f16_e64 v118, v118, v161
	v_mul_f16_e64 v113, v113, v163
	;; [unrolled: 1-line block ×3, first 2 shown]
	v_lshrrev_b32_e32 v158, 16, v153
	v_fma_f16 v161, v12, v161, -v162
	v_fma_f16 v164, v13, v164, -v165
	;; [unrolled: 1-line block ×3, first 2 shown]
	v_mul_f16_e64 v111, v111, v167
	v_mul_f16_e64 v110, v110, v169
	;; [unrolled: 1-line block ×5, first 2 shown]
	v_lshrrev_b32_e32 v185, 16, v94
	v_lshrrev_b32_e32 v160, 16, v154
	v_fma_f16 v165, v9, v169, -v170
	v_fma_f16 v166, v10, v167, -v168
	;; [unrolled: 1-line block ×3, first 2 shown]
	v_mul_f16_e64 v107, v107, v173
	v_mul_f16_e64 v109, v109, v175
	v_fma_f16 v168, v6, v173, -v174
	v_mul_f16_e64 v106, v106, v177
	v_fma_f16 v171, v0, v183, -v184
	v_fma_f16 v172, v1, v179, -v180
	;; [unrolled: 1-line block ×3, first 2 shown]
	v_fmac_f16_e32 v104, v1, v34
	v_fmac_f16_e32 v105, v2, v45
	;; [unrolled: 1-line block ×3, first 2 shown]
	v_fmac_f16_e64 v138, v3, v32
	v_fmac_f16_e32 v126, v4, v35
	v_fmac_f16_e32 v123, v5, v36
	;; [unrolled: 1-line block ×5, first 2 shown]
	v_sub_f16_e64 v2, v155, v159
	v_sub_f16_e64 v3, v156, v157
	v_fmac_f16_e32 v111, v10, v39
	v_fmac_f16_e32 v110, v9, v40
	;; [unrolled: 1-line block ×3, first 2 shown]
	v_sub_f16_e64 v4, v161, v163
	v_sub_f16_e64 v5, v158, v164
	v_lshrrev_b32_e32 v162, 16, v46
	v_fma_f16 v169, v7, v177, -v178
	v_fma_f16 v170, v8, v175, -v176
	v_fmac_f16_e32 v107, v6, v41
	v_fmac_f16_e32 v109, v8, v43
	;; [unrolled: 1-line block ×3, first 2 shown]
	v_sub_f16_e64 v0, v185, v172
	v_sub_f16_e64 v1, v171, v173
	v_sub_f16_e64 v6, v165, v167
	v_sub_f16_e64 v7, v160, v166
	v_sub_f16_e32 v11, v103, v105
	v_sub_f16_e32 v13, v94, v104
	;; [unrolled: 1-line block ×3, first 2 shown]
	v_sub_f16_e64 v32, v138, v123
	v_fma_f16 v33, v155, 2.0, -v2
	v_fma_f16 v34, v156, 2.0, -v3
	v_sub_f16_e32 v35, v118, v113
	v_sub_f16_e64 v36, v153, v112
	v_fma_f16 v37, v161, 2.0, -v4
	v_fma_f16 v38, v158, 2.0, -v5
	v_sub_f16_e64 v39, v154, v111
	v_sub_f16_e32 v40, v110, v108
	v_sub_f16_e64 v8, v168, v170
	v_sub_f16_e64 v9, v162, v169
	v_fma_f16 v10, v185, 2.0, -v0
	v_fma_f16 v12, v171, 2.0, -v1
	;; [unrolled: 1-line block ×4, first 2 shown]
	v_sub_f16_e32 v43, v46, v106
	v_sub_f16_e32 v44, v107, v109
	v_fma_f16 v103, v103, 2.0, -v11
	v_fma_f16 v94, v94, 2.0, -v13
	v_add_f16_e32 v1, v13, v1
	v_sub_f16_e32 v11, v0, v11
	v_fma_f16 v95, v95, 2.0, -v14
	v_fma_f16 v104, v138, 2.0, -v32
	v_add_f16_e32 v2, v14, v2
	v_sub_f16_e32 v32, v3, v32
	v_sub_f16_e32 v33, v34, v33
	v_fma_f16 v105, v118, 2.0, -v35
	v_fma_f16 v106, v153, 2.0, -v36
	v_add_f16_e32 v4, v36, v4
	v_sub_f16_e32 v37, v38, v37
	v_fma_f16 v108, v154, 2.0, -v39
	v_fma_f16 v109, v110, 2.0, -v40
	v_fma_f16 v45, v168, 2.0, -v8
	v_fma_f16 v47, v162, 2.0, -v9
	v_sub_f16_e32 v12, v10, v12
	v_sub_f16_e32 v35, v5, v35
	v_add_f16_e32 v6, v39, v6
	v_sub_f16_e32 v40, v7, v40
	v_sub_f16_e32 v41, v42, v41
	v_fma_f16 v46, v46, 2.0, -v43
	v_fma_f16 v107, v107, 2.0, -v44
	v_add_f16_e32 v8, v43, v8
	v_sub_f16_e32 v44, v9, v44
	v_sub_f16_e32 v103, v94, v103
	v_pack_b32_f16 v110, v1, v11
	v_fma_f16 v1, v13, 2.0, -v1
	v_fma_f16 v0, v0, 2.0, -v11
	;; [unrolled: 1-line block ×4, first 2 shown]
	v_sub_f16_e32 v13, v95, v104
	v_fma_f16 v14, v34, 2.0, -v33
	v_sub_f16_e32 v34, v106, v105
	v_pack_b32_f16 v2, v2, v32
	v_fma_f16 v32, v36, 2.0, -v4
	v_fma_f16 v36, v38, 2.0, -v37
	v_sub_f16_e32 v38, v108, v109
	v_sub_f16_e32 v45, v47, v45
	v_fma_f16 v10, v10, 2.0, -v12
	v_fma_f16 v5, v5, 2.0, -v35
	v_pack_b32_f16 v4, v4, v35
	v_fma_f16 v35, v39, 2.0, -v6
	v_fma_f16 v7, v7, 2.0, -v40
	v_fma_f16 v39, v42, 2.0, -v41
	v_pack_b32_f16 v6, v6, v40
	v_fma_f16 v40, v43, 2.0, -v8
	v_fma_f16 v9, v9, 2.0, -v44
	v_sub_f16_e32 v42, v46, v107
	v_pack_b32_f16 v8, v8, v44
	v_fma_f16 v44, v94, 2.0, -v103
	v_pack_b32_f16 v0, v1, v0
	v_pack_b32_f16 v1, v11, v3
	v_fma_f16 v3, v95, 2.0, -v13
	v_pack_b32_f16 v12, v103, v12
	v_pack_b32_f16 v11, v13, v33
	v_fma_f16 v13, v106, 2.0, -v34
	v_fma_f16 v33, v108, 2.0, -v38
	;; [unrolled: 1-line block ×3, first 2 shown]
	v_pack_b32_f16 v7, v35, v7
	v_fma_f16 v35, v46, 2.0, -v42
	v_pack_b32_f16 v10, v44, v10
	v_pack_b32_f16 v3, v3, v14
	v_pack_b32_f16 v5, v32, v5
	ds_store_2addr_b32 v96, v12, v110 offset0:20 offset1:30
	v_pack_b32_f16 v12, v13, v36
	v_pack_b32_f16 v32, v34, v37
	;; [unrolled: 1-line block ×7, first 2 shown]
	ds_store_2addr_b32 v96, v10, v0 offset1:10
	ds_store_2addr_b32 v98, v3, v1 offset1:10
	ds_store_2addr_b32 v98, v11, v2 offset0:20 offset1:30
	ds_store_2addr_b32 v100, v12, v5 offset1:10
	ds_store_2addr_b32 v100, v32, v4 offset0:20 offset1:30
	;; [unrolled: 2-line block ×4, first 2 shown]
	global_wb scope:SCOPE_SE
	s_wait_dscnt 0x0
	s_barrier_signal -1
	s_barrier_wait -1
	global_inv scope:SCOPE_SE
	ds_load_2addr_b32 v[0:1], v60 offset0:96 offset1:112
	ds_load_2addr_b32 v[2:3], v60 offset0:160 offset1:176
	ds_load_2addr_b32 v[4:5], v93 offset1:16
	ds_load_2addr_b32 v[6:7], v60 offset0:192 offset1:208
	ds_load_2addr_b32 v[8:9], v60 offset0:128 offset1:144
	;; [unrolled: 1-line block ×5, first 2 shown]
	ds_load_2addr_b32 v[34:35], v60 offset1:16
	ds_load_2addr_b32 v[36:37], v60 offset0:32 offset1:48
	global_wb scope:SCOPE_SE
	s_wait_dscnt 0x0
	s_barrier_signal -1
	s_barrier_wait -1
	global_inv scope:SCOPE_SE
	v_lshrrev_b32_e32 v14, 16, v0
	v_mul_f16_e64 v38, v140, v0
	v_lshrrev_b32_e32 v39, 16, v3
	v_mul_f16_e64 v40, v135, v3
	;; [unrolled: 2-line block ×12, first 2 shown]
	v_lshrrev_b32_e32 v109, 16, v2
	v_lshrrev_b32_e32 v111, 16, v13
	;; [unrolled: 1-line block ×3, first 2 shown]
	v_mul_f16_e32 v110, v124, v2
	v_mul_f16_e32 v112, v125, v13
	;; [unrolled: 1-line block ×3, first 2 shown]
	v_mul_f16_e64 v140, v140, v14
	v_fma_f16 v14, v18, v14, -v38
	v_mul_f16_e64 v38, v135, v39
	v_fma_f16 v39, v19, v39, -v40
	;; [unrolled: 2-line block ×3, first 2 shown]
	v_mul_f16_e64 v42, v136, v43
	v_mul_f16_e64 v135, v137, v45
	v_fma_f16 v43, v27, v43, -v44
	v_mul_f16_e64 v44, v134, v47
	v_fma_f16 v47, v28, v47, -v94
	v_fma_f16 v45, v29, v45, -v46
	v_mul_f16_e64 v46, v132, v95
	v_mul_f16_e64 v94, v131, v97
	v_fma_f16 v97, v24, v97, -v98
	v_fma_f16 v95, v25, v95, -v96
	v_mul_f16_e64 v96, v133, v99
	v_fma_f16 v98, v26, v99, -v100
	v_mul_f16_e64 v99, v129, v103
	v_mul_f16_e64 v100, v130, v105
	v_fma_f16 v103, v21, v103, -v104
	v_mul_f16_e64 v104, v128, v107
	v_fma_f16 v107, v22, v107, -v108
	v_fma_f16 v105, v23, v105, -v106
	v_mul_f16_e32 v106, v124, v109
	v_mul_f16_e32 v108, v125, v111
	;; [unrolled: 1-line block ×3, first 2 shown]
	v_lshrrev_b32_e32 v123, 16, v34
	v_lshrrev_b32_e32 v126, 16, v35
	v_fma_f16 v113, v15, v113, -v118
	v_fma_f16 v109, v16, v109, -v110
	;; [unrolled: 1-line block ×3, first 2 shown]
	v_fmac_f16_e64 v140, v18, v0
	v_fmac_f16_e32 v38, v19, v3
	v_fmac_f16_e32 v40, v20, v4
	;; [unrolled: 1-line block ×7, first 2 shown]
	v_lshrrev_b32_e32 v138, 16, v36
	v_lshrrev_b32_e32 v153, 16, v37
	;; [unrolled: 1-line block ×3, first 2 shown]
	v_fmac_f16_e32 v42, v27, v1
	v_fmac_f16_e64 v135, v29, v5
	v_fmac_f16_e32 v94, v24, v8
	v_fmac_f16_e32 v96, v26, v10
	;; [unrolled: 1-line block ×5, first 2 shown]
	v_sub_f16_e32 v0, v113, v110
	v_sub_f16_e32 v1, v123, v109
	v_sub_f16_e32 v2, v14, v41
	v_sub_f16_e32 v3, v126, v39
	v_sub_f16_e32 v10, v34, v106
	v_sub_f16_e32 v11, v35, v38
	v_sub_f16_e32 v12, v36, v44
	v_sub_f16_e32 v13, v37, v46
	v_sub_f16_e32 v16, v124, v108
	v_sub_f16_e64 v19, v140, v40
	v_sub_f16_e32 v4, v43, v45
	v_sub_f16_e64 v5, v138, v47
	v_sub_f16_e32 v6, v97, v98
	;; [unrolled: 2-line block ×5, first 2 shown]
	v_sub_f16_e32 v27, v99, v100
	v_fma_f16 v17, v113, 2.0, -v0
	v_fma_f16 v18, v123, 2.0, -v1
	;; [unrolled: 1-line block ×9, first 2 shown]
	v_add_f16_e32 v0, v10, v0
	v_sub_f16_e32 v16, v1, v16
	v_fma_f16 v38, v140, 2.0, -v19
	v_add_f16_e32 v2, v11, v2
	v_sub_f16_e32 v19, v3, v19
	v_fma_f16 v22, v43, 2.0, -v4
	v_fma_f16 v23, v138, 2.0, -v5
	;; [unrolled: 1-line block ×8, first 2 shown]
	v_add_f16_e32 v4, v12, v4
	v_sub_f16_e32 v21, v5, v21
	v_fma_f16 v40, v94, 2.0, -v24
	v_add_f16_e32 v6, v13, v6
	v_sub_f16_e32 v24, v7, v24
	v_fma_f16 v41, v99, 2.0, -v27
	v_add_f16_e32 v8, v15, v8
	v_sub_f16_e32 v27, v9, v27
	v_sub_f16_e32 v17, v18, v17
	;; [unrolled: 1-line block ×3, first 2 shown]
	v_fma_f16 v10, v10, 2.0, -v0
	v_fma_f16 v1, v1, 2.0, -v16
	v_pack_b32_f16 v0, v0, v16
	v_fma_f16 v11, v11, 2.0, -v2
	v_fma_f16 v3, v3, 2.0, -v19
	v_pack_b32_f16 v2, v2, v19
	v_sub_f16_e32 v16, v33, v37
	v_sub_f16_e32 v19, v34, v38
	;; [unrolled: 1-line block ×5, first 2 shown]
	v_fma_f16 v12, v12, 2.0, -v4
	v_fma_f16 v5, v5, 2.0, -v21
	v_pack_b32_f16 v4, v4, v21
	v_fma_f16 v13, v13, 2.0, -v6
	v_fma_f16 v7, v7, 2.0, -v24
	v_pack_b32_f16 v6, v6, v24
	;; [unrolled: 3-line block ×3, first 2 shown]
	v_sub_f16_e32 v21, v35, v39
	v_sub_f16_e32 v24, v36, v40
	;; [unrolled: 1-line block ×3, first 2 shown]
	v_fma_f16 v18, v18, 2.0, -v17
	v_fma_f16 v20, v20, 2.0, -v14
	v_pack_b32_f16 v1, v10, v1
	v_fma_f16 v10, v33, 2.0, -v16
	v_pack_b32_f16 v3, v11, v3
	v_fma_f16 v11, v34, 2.0, -v19
	v_fma_f16 v23, v23, 2.0, -v22
	v_fma_f16 v26, v26, 2.0, -v25
	v_fma_f16 v29, v29, 2.0, -v28
	v_pack_b32_f16 v5, v12, v5
	v_fma_f16 v12, v35, 2.0, -v21
	v_pack_b32_f16 v7, v13, v7
	v_fma_f16 v13, v36, 2.0, -v24
	;; [unrolled: 2-line block ×3, first 2 shown]
	v_pack_b32_f16 v10, v10, v18
	v_pack_b32_f16 v11, v11, v20
	;; [unrolled: 1-line block ×6, first 2 shown]
	ds_store_b32 v60, v1 offset:160
	ds_store_b32 v60, v0 offset:480
	;; [unrolled: 1-line block ×3, first 2 shown]
	v_pack_b32_f16 v0, v12, v23
	v_pack_b32_f16 v1, v13, v26
	;; [unrolled: 1-line block ×4, first 2 shown]
	ds_store_2addr_b32 v60, v10, v11 offset1:16
	ds_store_b32 v60, v3 offset:224
	ds_store_b32 v60, v14 offset:384
	ds_store_b32 v60, v2 offset:544
	ds_store_2addr_b32 v102, v0, v5 offset1:40
	ds_store_2addr_b32 v102, v17, v4 offset0:80 offset1:120
	ds_store_2addr_b32 v60, v1, v12 offset0:168 offset1:184
	;; [unrolled: 1-line block ×5, first 2 shown]
	global_wb scope:SCOPE_SE
	s_wait_dscnt 0x0
	s_barrier_signal -1
	s_barrier_wait -1
	global_inv scope:SCOPE_SE
	ds_load_2addr_b32 v[0:1], v60 offset0:160 offset1:176
	ds_load_2addr_b32 v[2:3], v60 offset0:192 offset1:208
	ds_load_2addr_b32 v[4:5], v60 offset1:16
	ds_load_2addr_b32 v[6:7], v60 offset0:224 offset1:240
	ds_load_2addr_b32 v[8:9], v60 offset0:32 offset1:48
	ds_load_2addr_b32 v[10:11], v60 offset0:64 offset1:80
	ds_load_2addr_b32 v[12:13], v93 offset1:16
	ds_load_2addr_b32 v[14:15], v60 offset0:96 offset1:112
	ds_load_2addr_b32 v[16:17], v60 offset0:128 offset1:144
	;; [unrolled: 1-line block ×3, first 2 shown]
	s_wait_dscnt 0x9
	v_lshrrev_b32_e32 v20, 16, v0
	v_mul_f16_e64 v21, v152, v0
	v_lshrrev_b32_e32 v22, 16, v1
	v_mul_f16_e64 v23, v151, v1
	s_wait_dscnt 0x8
	v_lshrrev_b32_e32 v24, 16, v2
	v_mul_f16_e64 v25, v150, v2
	v_lshrrev_b32_e32 v26, 16, v3
	v_mul_f16_e64 v29, v149, v3
	;; [unrolled: 5-line block ×5, first 2 shown]
	v_fma_f16 v20, v114, v20, -v21
	v_mul_f16_e64 v21, v151, v22
	v_fma_f16 v22, v115, v22, -v23
	v_mul_f16_e64 v23, v150, v24
	;; [unrolled: 2-line block ×3, first 2 shown]
	v_lshrrev_b32_e32 v27, 16, v4
	v_lshrrev_b32_e32 v28, 16, v5
	;; [unrolled: 1-line block ×3, first 2 shown]
	v_mul_f16_e64 v93, v143, v19
	v_fma_f16 v26, v117, v26, -v29
	v_mul_f16_e64 v29, v148, v32
	v_fma_f16 v32, v119, v32, -v33
	;; [unrolled: 2-line block ×6, first 2 shown]
	v_mul_f16_e64 v46, v143, v47
	v_fmac_f16_e32 v97, v114, v0
	v_fmac_f16_e32 v21, v115, v1
	v_lshrrev_b32_e32 v35, 16, v8
	v_fmac_f16_e32 v23, v116, v2
	v_fmac_f16_e32 v25, v117, v3
	v_lshrrev_b32_e32 v41, 16, v10
	v_lshrrev_b32_e32 v42, 16, v11
	v_lshrrev_b32_e32 v44, 16, v14
	v_lshrrev_b32_e32 v94, 16, v15
	v_lshrrev_b32_e32 v95, 16, v16
	v_lshrrev_b32_e32 v96, 16, v17
	v_fma_f16 v47, v142, v47, -v93
	v_fmac_f16_e32 v29, v119, v6
	v_fmac_f16_e32 v33, v120, v7
	;; [unrolled: 1-line block ×4, first 2 shown]
	v_fmac_f16_e64 v43, v141, v18
	v_fmac_f16_e64 v46, v142, v19
	v_sub_f16_e32 v0, v27, v20
	v_sub_f16_e32 v1, v28, v22
	;; [unrolled: 1-line block ×14, first 2 shown]
	v_fma_f16 v22, v27, 2.0, -v0
	v_fma_f16 v24, v28, 2.0, -v1
	v_fma_f16 v27, v36, 2.0, -v3
	v_sub_f16_e32 v28, v10, v29
	v_sub_f16_e32 v32, v11, v33
	;; [unrolled: 1-line block ×6, first 2 shown]
	v_fma_f16 v4, v4, 2.0, -v20
	v_fma_f16 v5, v5, 2.0, -v21
	v_pack_b32_f16 v0, v20, v0
	v_fma_f16 v26, v35, 2.0, -v2
	v_fma_f16 v8, v8, 2.0, -v23
	;; [unrolled: 1-line block ×15, first 2 shown]
	v_pack_b32_f16 v4, v4, v22
	ds_store_b32 v60, v0 offset:640
	v_pack_b32_f16 v0, v5, v24
	v_pack_b32_f16 v1, v21, v1
	;; [unrolled: 1-line block ×18, first 2 shown]
	ds_store_2addr_b32 v60, v4, v0 offset1:16
	ds_store_b32 v60, v1 offset:704
	ds_store_b32 v60, v5 offset:128
	;; [unrolled: 1-line block ×7, first 2 shown]
	ds_store_2addr_b32 v58, v6, v7 offset0:224 offset1:240
	ds_store_b32 v60, v11 offset:384
	ds_store_b32 v58, v14 offset:448
	ds_store_2addr_b32 v73, v12, v13 offset1:16
	ds_store_b32 v60, v15 offset:512
	ds_store_b32 v58, v16 offset:576
	ds_store_2addr_b32 v73, v18, v19 offset0:32 offset1:48
	global_wb scope:SCOPE_SE
	s_wait_dscnt 0x0
	s_barrier_signal -1
	s_barrier_wait -1
	global_inv scope:SCOPE_SE
	ds_load_2addr_b32 v[4:5], v60 offset1:16
	ds_load_2addr_b32 v[0:1], v60 offset0:32 offset1:48
	ds_load_2addr_b32 v[2:3], v60 offset0:64 offset1:96
	v_mad_co_u64_u32 v[22:23], null, s8, v83, 0
	s_wait_dscnt 0x2
	v_lshrrev_b32_e32 v6, 16, v4
	v_mul_f16_e32 v7, v91, v4
	s_wait_dscnt 0x1
	v_lshrrev_b32_e32 v8, 16, v0
	v_mul_f16_e32 v9, v90, v0
	;; [unrolled: 3-line block ×3, first 2 shown]
	v_fma_f16 v7, v85, v6, -v7
	v_mul_f16_e32 v12, v91, v6
	v_fma_f16 v9, v87, v8, -v9
	v_mul_f16_e32 v16, v89, v10
	v_fma_f16 v11, v86, v10, -v11
	v_cvt_f32_f16_e32 v7, v7
	v_fmac_f16_e32 v12, v85, v4
	v_cvt_f32_f16_e32 v9, v9
	v_mul_f16_e32 v4, v90, v8
	v_cvt_f32_f16_e32 v11, v11
	v_cvt_f64_f32_e32 v[6:7], v7
	v_cvt_f32_f16_e32 v12, v12
	v_cvt_f64_f32_e32 v[8:9], v9
	v_fmac_f16_e32 v4, v87, v0
	v_cvt_f64_f32_e32 v[10:11], v11
	v_fmac_f16_e32 v16, v86, v2
	v_cvt_f64_f32_e32 v[12:13], v12
	v_lshrrev_b32_e32 v2, 16, v3
	v_cvt_f32_f16_e32 v0, v4
	s_delay_alu instid0(VALU_DEP_2) | instskip(NEXT) | instid1(VALU_DEP_2)
	v_mul_f16_e32 v4, v88, v2
	v_cvt_f64_f32_e32 v[14:15], v0
	v_cvt_f32_f16_e32 v0, v16
	s_delay_alu instid0(VALU_DEP_3) | instskip(NEXT) | instid1(VALU_DEP_2)
	v_fmac_f16_e32 v4, v84, v3
	v_cvt_f64_f32_e32 v[16:17], v0
	s_delay_alu instid0(VALU_DEP_2) | instskip(NEXT) | instid1(VALU_DEP_1)
	v_cvt_f32_f16_e32 v0, v4
	v_cvt_f64_f32_e32 v[18:19], v0
	v_mov_b32_e32 v0, v23
	s_wait_alu 0xfffe
	v_mul_f64_e32 v[20:21], s[10:11], v[6:7]
	v_mul_f64_e32 v[24:25], s[10:11], v[8:9]
	;; [unrolled: 1-line block ×3, first 2 shown]
	v_mad_co_u64_u32 v[10:11], null, s9, v83, v[0:1]
	v_mul_f64_e32 v[12:13], s[10:11], v[12:13]
	v_mul_f16_e32 v0, v88, v3
	v_mul_f64_e32 v[14:15], s[10:11], v[14:15]
	s_delay_alu instid0(VALU_DEP_2)
	v_fma_f16 v0, v84, v2, -v0
	v_mov_b32_e32 v23, v10
	v_lshlrev_b64_e32 v[2:3], 2, v[30:31]
	ds_load_2addr_b32 v[10:11], v60 offset0:128 offset1:160
	v_mul_f64_e32 v[8:9], s[10:11], v[16:17]
	v_cvt_f32_f16_e32 v0, v0
	v_lshlrev_b64_e32 v[16:17], 2, v[22:23]
	v_add_co_u32 v4, vcc_lo, s0, v2
	s_wait_alu 0xfffd
	v_add_co_ci_u32_e32 v26, vcc_lo, s1, v3, vcc_lo
	v_cvt_f64_f32_e32 v[22:23], v0
	v_mul_f64_e32 v[2:3], s[10:11], v[18:19]
	v_and_or_b32 v0, 0x1ff, v21, v20
	v_lshrrev_b32_e32 v18, 8, v21
	v_bfe_u32 v19, v21, 20, 11
	v_lshrrev_b32_e32 v20, 16, v21
	v_and_or_b32 v21, 0x1ff, v25, v24
	v_cmp_ne_u32_e32 vcc_lo, 0, v0
	v_and_or_b32 v6, 0x1ff, v7, v6
	v_and_or_b32 v12, 0x1ff, v13, v12
	v_lshrrev_b32_e32 v24, 8, v25
	v_bfe_u32 v31, v13, 20, 11
	s_wait_alu 0xfffd
	v_cndmask_b32_e64 v0, 0, 1, vcc_lo
	v_cmp_ne_u32_e32 vcc_lo, 0, v21
	v_bfe_u32 v27, v25, 20, 11
	v_and_or_b32 v14, 0x1ff, v15, v14
	v_lshrrev_b32_e32 v30, 8, v13
	v_and_or_b32 v0, 0xffe, v18, v0
	s_wait_alu 0xfffd
	v_cndmask_b32_e64 v21, 0, 1, vcc_lo
	v_cmp_ne_u32_e32 vcc_lo, 0, v6
	v_sub_nc_u32_e32 v32, 0x3f1, v19
	v_and_or_b32 v8, 0x1ff, v9, v8
	v_add_nc_u32_e32 v19, 0xfffffc10, v19
	v_bfe_u32 v34, v15, 20, 11
	s_wait_alu 0xfffd
	v_cndmask_b32_e64 v6, 0, 1, vcc_lo
	v_cmp_ne_u32_e32 vcc_lo, 0, v12
	v_sub_nc_u32_e32 v39, 0x3f1, v31
	v_and_or_b32 v18, 0xffe, v24, v21
	v_lshrrev_b32_e32 v33, 8, v15
	v_sub_nc_u32_e32 v35, 0x3f1, v27
	s_wait_alu 0xfffd
	v_cndmask_b32_e64 v12, 0, 1, vcc_lo
	v_cmp_ne_u32_e32 vcc_lo, 0, v14
	v_add_nc_u32_e32 v27, 0xfffffc10, v27
	v_lshrrev_b32_e32 v36, 8, v9
	v_bfe_u32 v37, v9, 20, 11
	v_med3_i32 v32, v32, 0, 13
	s_wait_alu 0xfffd
	v_cndmask_b32_e64 v14, 0, 1, vcc_lo
	v_cmp_ne_u32_e32 vcc_lo, 0, v8
	v_sub_nc_u32_e32 v40, 0x3f1, v34
	v_med3_i32 v21, v39, 0, 13
	v_and_or_b32 v12, 0xffe, v30, v12
	v_or_b32_e32 v30, 0x1000, v0
	s_wait_alu 0xfffd
	v_cndmask_b32_e64 v8, 0, 1, vcc_lo
	v_cmp_ne_u32_e32 vcc_lo, 0, v0
	v_lshl_or_b32 v39, v19, 12, v0
	v_lshrrev_b32_e32 v28, 8, v7
	v_add_nc_u32_e32 v31, 0xfffffc10, v31
	v_med3_i32 v35, v35, 0, 13
	s_wait_alu 0xfffd
	v_cndmask_b32_e64 v0, 0, 1, vcc_lo
	v_cmp_ne_u32_e32 vcc_lo, 0, v18
	v_sub_nc_u32_e32 v41, 0x3f1, v37
	v_add_nc_u32_e32 v37, 0xfffffc10, v37
	v_med3_i32 v24, v40, 0, 13
	v_and_or_b32 v14, 0xffe, v33, v14
	v_or_b32_e32 v33, 0x1000, v18
	v_lshl_or_b32 v40, v27, 12, v18
	v_and_or_b32 v8, 0xffe, v36, v8
	s_wait_alu 0xfffd
	v_cndmask_b32_e64 v18, 0, 1, vcc_lo
	v_lshrrev_b32_e32 v43, v32, v30
	v_cmp_ne_u32_e32 vcc_lo, 0, v12
	v_and_or_b32 v6, 0xffe, v28, v6
	v_med3_i32 v28, v41, 0, 13
	v_or_b32_e32 v41, 0x1000, v12
	v_lshl_or_b32 v42, v31, 12, v12
	v_lshrrev_b32_e32 v46, v35, v33
	v_lshl_or_b32 v83, v37, 12, v8
	v_add_nc_u32_e32 v34, 0xfffffc10, v34
	s_wait_alu 0xfffd
	v_cndmask_b32_e64 v12, 0, 1, vcc_lo
	v_cmp_ne_u32_e32 vcc_lo, 0, v14
	v_lshlrev_b32_e32 v32, v32, v43
	v_or_b32_e32 v44, 0x1000, v14
	v_lshl_or_b32 v45, v34, 12, v14
	v_lshrrev_b32_e32 v84, v21, v41
	s_wait_alu 0xfffd
	v_cndmask_b32_e64 v14, 0, 1, vcc_lo
	v_lshlrev_b32_e32 v35, v35, v46
	v_cmp_ne_u32_e32 vcc_lo, v32, v30
	v_lshrrev_b32_e32 v85, v24, v44
	v_lshlrev_b32_e32 v21, v21, v84
	v_or_b32_e32 v47, 0x1000, v8
	v_lshl_or_b32 v12, v12, 9, 0x7c00
	s_wait_alu 0xfffd
	v_cndmask_b32_e64 v30, 0, 1, vcc_lo
	v_cmp_ne_u32_e32 vcc_lo, v35, v33
	v_lshlrev_b32_e32 v24, v24, v85
	v_lshrrev_b32_e32 v86, v28, v47
	v_lshl_or_b32 v0, v0, 9, 0x7c00
	v_or_b32_e32 v30, v43, v30
	s_wait_alu 0xfffd
	v_cndmask_b32_e64 v32, 0, 1, vcc_lo
	v_cmp_ne_u32_e32 vcc_lo, v21, v41
	v_lshlrev_b32_e32 v28, v28, v86
	v_lshl_or_b32 v18, v18, 9, 0x7c00
	v_bfe_u32 v29, v7, 20, 11
	v_or_b32_e32 v32, v46, v32
	s_wait_alu 0xfffd
	v_cndmask_b32_e64 v21, 0, 1, vcc_lo
	v_cmp_ne_u32_e32 vcc_lo, v24, v44
	v_lshrrev_b32_e32 v13, 16, v13
	v_lshl_or_b32 v14, v14, 9, 0x7c00
	v_sub_nc_u32_e32 v38, 0x3f1, v29
	v_or_b32_e32 v21, v84, v21
	s_wait_alu 0xfffd
	v_cndmask_b32_e64 v24, 0, 1, vcc_lo
	v_cmp_gt_i32_e32 vcc_lo, 1, v19
	v_or_b32_e32 v36, 0x1000, v6
	v_med3_i32 v38, v38, 0, 13
	v_lshrrev_b32_e32 v15, 16, v15
	v_or_b32_e32 v24, v85, v24
	s_wait_alu 0xfffd
	v_cndmask_b32_e32 v30, v39, v30, vcc_lo
	v_cmp_gt_i32_e32 vcc_lo, 1, v27
	v_lshrrev_b32_e32 v25, 16, v25
	v_and_or_b32 v2, 0x1ff, v3, v2
	v_lshrrev_b32_e32 v9, 16, v9
	s_wait_alu 0xfffd
	v_dual_cndmask_b32 v32, v40, v32 :: v_dual_and_b32 v33, 7, v30
	v_cmp_gt_i32_e32 vcc_lo, 1, v31
	v_lshrrev_b32_e32 v30, 2, v30
	v_lshrrev_b32_e32 v7, 16, v7
	s_delay_alu instid0(VALU_DEP_4)
	v_cmp_eq_u32_e64 s0, 3, v33
	v_and_b32_e32 v35, 7, v32
	s_wait_alu 0xfffd
	v_cndmask_b32_e32 v21, v42, v21, vcc_lo
	v_cmp_gt_i32_e32 vcc_lo, 1, v34
	v_lshrrev_b32_e32 v32, 2, v32
	v_cmp_lt_i32_e64 s3, 5, v35
	s_wait_alu 0xfffd
	v_dual_cndmask_b32 v24, v45, v24 :: v_dual_and_b32 v39, 7, v21
	v_cmp_lt_i32_e32 vcc_lo, 5, v33
	v_cmp_eq_u32_e64 s4, 3, v35
	v_lshrrev_b32_e32 v21, 2, v21
	s_delay_alu instid0(VALU_DEP_4)
	v_cmp_lt_i32_e64 s1, 5, v39
	v_cmp_eq_u32_e64 s2, 3, v39
	s_or_b32 vcc_lo, s0, vcc_lo
	v_and_b32_e32 v33, 7, v24
	s_wait_alu 0xfffe
	v_add_co_ci_u32_e32 v30, vcc_lo, 0, v30, vcc_lo
	s_or_b32 vcc_lo, s4, s3
	s_or_b32 s1, s2, s1
	s_wait_alu 0xfffe
	v_add_co_ci_u32_e32 v32, vcc_lo, 0, v32, vcc_lo
	v_cmp_lt_i32_e64 s5, 5, v33
	v_cmp_eq_u32_e64 s6, 3, v33
	v_add_co_ci_u32_e64 v21, s1, 0, v21, s1
	v_cmp_gt_i32_e32 vcc_lo, 31, v31
	v_lshrrev_b32_e32 v24, 2, v24
	s_lshl_b64 s[2:3], s[8:9], 7
	s_mul_i32 s4, s9, 0xfffffbc0
	s_wait_alu 0xfffd
	v_cndmask_b32_e32 v21, 0x7c00, v21, vcc_lo
	s_or_b32 vcc_lo, s6, s5
	s_wait_alu 0xfffe
	v_add_co_ci_u32_e32 v24, vcc_lo, 0, v24, vcc_lo
	v_cmp_gt_i32_e32 vcc_lo, 31, v19
	s_wait_alu 0xfffd
	v_cndmask_b32_e32 v30, 0x7c00, v30, vcc_lo
	v_cmp_eq_u32_e32 vcc_lo, 0x40f, v31
	s_wait_alu 0xfffd
	v_cndmask_b32_e32 v12, v21, v12, vcc_lo
	v_cmp_ne_u32_e32 vcc_lo, v28, v47
	s_delay_alu instid0(VALU_DEP_2) | instskip(SKIP_3) | instid1(VALU_DEP_3)
	v_and_or_b32 v12, 0x8000, v13, v12
	s_wait_alu 0xfffd
	v_cndmask_b32_e64 v21, 0, 1, vcc_lo
	v_cmp_gt_i32_e32 vcc_lo, 31, v27
	v_and_b32_e32 v12, 0xffff, v12
	s_delay_alu instid0(VALU_DEP_3)
	v_or_b32_e32 v13, v86, v21
	s_wait_alu 0xfffd
	v_cndmask_b32_e32 v28, 0x7c00, v32, vcc_lo
	v_cmp_gt_i32_e32 vcc_lo, 31, v34
	s_wait_alu 0xfffd
	v_cndmask_b32_e32 v24, 0x7c00, v24, vcc_lo
	v_cmp_eq_u32_e32 vcc_lo, 0x40f, v19
	s_wait_alu 0xfffd
	v_cndmask_b32_e32 v0, v30, v0, vcc_lo
	v_cmp_eq_u32_e32 vcc_lo, 0x40f, v27
	s_wait_dscnt 0x0
	v_lshrrev_b32_e32 v27, 16, v11
	s_delay_alu instid0(VALU_DEP_3)
	v_and_or_b32 v0, 0x8000, v20, v0
	s_wait_alu 0xfffd
	v_cndmask_b32_e32 v18, v28, v18, vcc_lo
	v_cmp_eq_u32_e32 vcc_lo, 0x40f, v34
	v_lshrrev_b32_e32 v20, v38, v36
	v_lshl_or_b32 v0, v0, 16, v12
	v_add_co_u32 v12, s1, v4, v16
	s_wait_alu 0xfffd
	v_cndmask_b32_e32 v14, v24, v14, vcc_lo
	v_cmp_gt_i32_e32 vcc_lo, 1, v37
	v_add_nc_u32_e32 v24, 0xfffffc10, v29
	v_and_or_b32 v18, 0x8000, v25, v18
	s_wait_alu 0xfffd
	v_cndmask_b32_e32 v19, v83, v13, vcc_lo
	v_and_or_b32 v13, 0x8000, v15, v14
	v_lshlrev_b32_e32 v15, v38, v20
	s_delay_alu instid0(VALU_DEP_3)
	v_and_b32_e32 v14, 7, v19
	v_lshrrev_b32_e32 v4, 2, v19
	v_lshrrev_b32_e32 v19, 16, v10
	v_and_b32_e32 v21, 0xffff, v13
	s_wait_alu 0xf1ff
	v_add_co_ci_u32_e64 v13, s1, v26, v17, s1
	v_cmp_lt_i32_e32 vcc_lo, 5, v14
	v_cmp_eq_u32_e64 s0, 3, v14
	v_cmp_ne_u32_e64 s1, v15, v36
	v_mul_f16_e32 v16, v82, v19
	v_lshl_or_b32 v21, v18, 16, v21
	global_store_b32 v[12:13], v0, off
	s_or_b32 vcc_lo, s0, vcc_lo
	v_cndmask_b32_e64 v14, 0, 1, s1
	s_wait_alu 0xfffe
	v_add_co_ci_u32_e32 v4, vcc_lo, 0, v4, vcc_lo
	v_cmp_ne_u32_e32 vcc_lo, 0, v8
	v_fmac_f16_e32 v16, v80, v10
	v_or_b32_e32 v17, v20, v14
	v_lshl_or_b32 v20, v24, 12, v6
	v_mul_f64_e32 v[14:15], s[10:11], v[22:23]
	s_wait_alu 0xfffd
	v_cndmask_b32_e64 v8, 0, 1, vcc_lo
	v_cmp_gt_i32_e32 vcc_lo, 1, v24
	v_cvt_f32_f16_e32 v16, v16
	v_cmp_ne_u32_e64 s1, 0, v2
	v_mul_f16_e32 v10, v82, v10
	v_lshl_or_b32 v8, v8, 9, 0x7c00
	s_wait_alu 0xfffd
	v_cndmask_b32_e32 v18, v20, v17, vcc_lo
	v_cmp_gt_i32_e32 vcc_lo, 31, v37
	v_cvt_f64_f32_e32 v[16:17], v16
	s_wait_alu 0xf1ff
	v_cndmask_b32_e64 v2, 0, 1, s1
	v_fma_f16 v10, v80, v19, -v10
	v_and_b32_e32 v20, 7, v18
	s_wait_alu 0xfffd
	v_cndmask_b32_e32 v4, 0x7c00, v4, vcc_lo
	v_cmp_eq_u32_e32 vcc_lo, 0x40f, v37
	v_mul_f16_e32 v0, v81, v27
	v_cvt_f32_f16_e32 v10, v10
	v_cmp_eq_u32_e64 s0, 3, v20
	s_wait_alu 0xfffd
	v_cndmask_b32_e32 v4, v4, v8, vcc_lo
	v_cmp_lt_i32_e32 vcc_lo, 5, v20
	v_lshrrev_b32_e32 v8, 2, v18
	v_lshrrev_b32_e32 v18, 8, v3
	v_bfe_u32 v20, v3, 20, 11
	v_and_or_b32 v4, 0x8000, v9, v4
	s_or_b32 vcc_lo, s0, vcc_lo
	v_fmac_f16_e32 v0, v79, v11
	s_wait_alu 0xfffe
	v_add_co_ci_u32_e32 v8, vcc_lo, 0, v8, vcc_lo
	v_cmp_ne_u32_e32 vcc_lo, 0, v6
	v_and_or_b32 v2, 0xffe, v18, v2
	v_sub_nc_u32_e32 v18, 0x3f1, v20
	v_add_nc_u32_e32 v20, 0xfffffc10, v20
	v_and_b32_e32 v4, 0xffff, v4
	s_wait_alu 0xfffd
	v_cndmask_b32_e64 v6, 0, 1, vcc_lo
	v_cmp_gt_i32_e32 vcc_lo, 31, v24
	v_med3_i32 v23, v18, 0, 13
	v_cvt_f64_f32_e32 v[18:19], v10
	v_or_b32_e32 v22, 0x1000, v2
	v_lshl_or_b32 v6, v6, 9, 0x7c00
	s_wait_alu 0xfffd
	v_cndmask_b32_e32 v8, 0x7c00, v8, vcc_lo
	v_cmp_eq_u32_e32 vcc_lo, 0x40f, v24
	v_cvt_f32_f16_e32 v0, v0
	v_lshrrev_b32_e32 v25, v23, v22
	v_mul_f16_e32 v11, v81, v11
	v_lshrrev_b32_e32 v3, 16, v3
	s_wait_alu 0xfffd
	v_cndmask_b32_e32 v6, v8, v6, vcc_lo
	v_and_or_b32 v8, 0x1ff, v15, v14
	v_lshlrev_b32_e32 v14, v23, v25
	v_mul_f64_e32 v[9:10], s[10:11], v[16:17]
	v_bfe_u32 v23, v15, 20, 11
	v_and_or_b32 v6, 0x8000, v7, v6
	v_cmp_ne_u32_e32 vcc_lo, 0, v8
	v_lshrrev_b32_e32 v8, 8, v15
	v_fma_f16 v11, v79, v27, -v11
	v_lshrrev_b32_e32 v15, 16, v15
	v_lshl_or_b32 v4, v6, 16, v4
	s_wait_alu 0xfffd
	v_cndmask_b32_e64 v7, 0, 1, vcc_lo
	v_cmp_ne_u32_e32 vcc_lo, v14, v22
	v_cvt_f32_f16_e32 v11, v11
	s_delay_alu instid0(VALU_DEP_3)
	v_and_or_b32 v22, 0xffe, v8, v7
	s_wait_alu 0xfffd
	v_cndmask_b32_e64 v14, 0, 1, vcc_lo
	v_add_co_u32 v16, vcc_lo, v12, s2
	s_wait_alu 0xfffd
	v_add_co_ci_u32_e32 v17, vcc_lo, s3, v13, vcc_lo
	s_delay_alu instid0(VALU_DEP_3)
	v_or_b32_e32 v8, v25, v14
	v_lshl_or_b32 v14, v20, 12, v2
	v_cmp_gt_i32_e32 vcc_lo, 1, v20
	v_sub_nc_u32_e32 v7, 0x3f1, v23
	v_or_b32_e32 v24, 0x1000, v22
	v_add_nc_u32_e32 v23, 0xfffffc10, v23
	global_store_b32 v[16:17], v21, off
	s_wait_alu 0xfffd
	v_cndmask_b32_e32 v8, v14, v8, vcc_lo
	v_med3_i32 v25, v7, 0, 13
	v_mul_f64_e32 v[18:19], s[10:11], v[18:19]
	v_add_co_u32 v6, vcc_lo, v16, s2
	s_delay_alu instid0(VALU_DEP_4) | instskip(NEXT) | instid1(VALU_DEP_4)
	v_and_b32_e32 v26, 7, v8
	v_lshrrev_b32_e32 v14, v25, v24
	s_wait_alu 0xfffd
	v_add_co_ci_u32_e32 v7, vcc_lo, s3, v17, vcc_lo
	v_lshrrev_b32_e32 v8, 2, v8
	v_cmp_lt_i32_e32 vcc_lo, 5, v26
	v_cmp_eq_u32_e64 s0, 3, v26
	v_lshlrev_b32_e32 v25, v25, v14
	global_store_b32 v[6:7], v4, off
	s_or_b32 vcc_lo, s0, vcc_lo
	v_cmp_ne_u32_e64 s1, v25, v24
	s_wait_alu 0xfffe
	v_add_co_ci_u32_e32 v13, vcc_lo, 0, v8, vcc_lo
	v_and_or_b32 v24, 0x1ff, v10, v9
	v_cmp_ne_u32_e32 vcc_lo, 0, v2
	s_wait_alu 0xf1ff
	v_cndmask_b32_e64 v12, 0, 1, s1
	v_cvt_f64_f32_e32 v[8:9], v0
	v_bfe_u32 v25, v10, 20, 11
	s_wait_alu 0xfffd
	v_cndmask_b32_e64 v2, 0, 1, vcc_lo
	v_cmp_ne_u32_e32 vcc_lo, 0, v24
	v_or_b32_e32 v12, v14, v12
	v_lshl_or_b32 v14, v23, 12, v22
	v_lshrrev_b32_e32 v24, 8, v10
	v_lshl_or_b32 v2, v2, 9, 0x7c00
	s_wait_alu 0xfffd
	v_cndmask_b32_e64 v0, 0, 1, vcc_lo
	v_cmp_gt_i32_e32 vcc_lo, 1, v23
	s_delay_alu instid0(VALU_DEP_2)
	v_and_or_b32 v0, 0xffe, v24, v0
	s_wait_alu 0xfffd
	v_cndmask_b32_e32 v12, v14, v12, vcc_lo
	v_cmp_gt_i32_e32 vcc_lo, 31, v20
	v_sub_nc_u32_e32 v14, 0x3f1, v25
	v_bfe_u32 v21, v19, 20, 11
	v_or_b32_e32 v17, 0x1000, v0
	s_wait_alu 0xfffd
	v_dual_cndmask_b32 v13, 0x7c00, v13 :: v_dual_and_b32 v16, 7, v12
	v_med3_i32 v14, v14, 0, 13
	v_cmp_eq_u32_e32 vcc_lo, 0x40f, v20
	v_lshrrev_b32_e32 v20, 8, v19
	s_delay_alu instid0(VALU_DEP_4)
	v_cmp_eq_u32_e64 s0, 3, v16
	v_sub_nc_u32_e32 v24, 0x3f1, v21
	s_wait_alu 0xfffd
	v_dual_cndmask_b32 v2, v13, v2 :: v_dual_add_nc_u32 v25, 0xfffffc10, v25
	v_and_or_b32 v13, 0x1ff, v19, v18
	v_lshrrev_b32_e32 v18, v14, v17
	v_cmp_lt_i32_e32 vcc_lo, 5, v16
	v_lshrrev_b32_e32 v16, 2, v12
	v_cvt_f64_f32_e32 v[11:12], v11
	v_cmp_ne_u32_e64 s1, 0, v13
	v_lshlrev_b32_e32 v14, v14, v18
	s_or_b32 vcc_lo, s0, vcc_lo
	v_med3_i32 v24, v24, 0, 13
	s_wait_alu 0xfffe
	v_add_co_ci_u32_e32 v16, vcc_lo, 0, v16, vcc_lo
	v_cmp_ne_u32_e32 vcc_lo, v14, v17
	v_cndmask_b32_e64 v13, 0, 1, s1
	v_and_or_b32 v2, 0x8000, v3, v2
	v_cmp_eq_u32_e64 s1, 0x40f, v25
	v_lshrrev_b32_e32 v19, 16, v19
	s_wait_alu 0xfffd
	v_cndmask_b32_e64 v17, 0, 1, vcc_lo
	v_cmp_ne_u32_e32 vcc_lo, 0, v22
	v_and_or_b32 v20, 0xffe, v20, v13
	v_mul_f64_e32 v[13:14], s[10:11], v[8:9]
	ds_load_2addr_b32 v[8:9], v58 offset0:144 offset1:192
	v_or_b32_e32 v17, v18, v17
	s_wait_alu 0xfffd
	v_cndmask_b32_e64 v22, 0, 1, vcc_lo
	v_cmp_gt_i32_e32 vcc_lo, 31, v23
	v_or_b32_e32 v26, 0x1000, v20
	v_lshl_or_b32 v18, v25, 12, v0
	s_delay_alu instid0(VALU_DEP_4)
	v_lshl_or_b32 v22, v22, 9, 0x7c00
	s_wait_alu 0xfffd
	v_cndmask_b32_e32 v16, 0x7c00, v16, vcc_lo
	v_cmp_gt_i32_e32 vcc_lo, 1, v25
	v_lshrrev_b32_e32 v27, v24, v26
	s_wait_alu 0xfffd
	v_cndmask_b32_e32 v17, v18, v17, vcc_lo
	v_cmp_eq_u32_e32 vcc_lo, 0x40f, v23
	s_delay_alu instid0(VALU_DEP_2)
	v_and_b32_e32 v18, 7, v17
	s_wait_alu 0xfffd
	v_cndmask_b32_e32 v16, v16, v22, vcc_lo
	v_lshlrev_b32_e32 v22, v24, v27
	v_lshrrev_b32_e32 v17, 2, v17
	v_cmp_lt_i32_e32 vcc_lo, 5, v18
	s_delay_alu instid0(VALU_DEP_4) | instskip(NEXT) | instid1(VALU_DEP_4)
	v_and_or_b32 v15, 0x8000, v15, v16
	v_cmp_ne_u32_e64 s0, v22, v26
	v_add_nc_u32_e32 v16, 0xfffffc10, v21
	s_wait_alu 0xf1ff
	s_delay_alu instid0(VALU_DEP_2)
	v_cndmask_b32_e64 v3, 0, 1, s0
	v_cmp_eq_u32_e64 s0, 3, v18
	v_and_b32_e32 v18, 0xffff, v2
	s_wait_dscnt 0x0
	v_lshrrev_b32_e32 v2, 16, v9
	v_or_b32_e32 v21, v27, v3
	v_mul_f64_e32 v[3:4], s[10:11], v[11:12]
	s_or_b32 vcc_lo, s0, vcc_lo
	v_lshl_or_b32 v11, v16, 12, v20
	s_wait_alu 0xfffe
	v_add_co_ci_u32_e32 v17, vcc_lo, 0, v17, vcc_lo
	v_cmp_ne_u32_e32 vcc_lo, 0, v0
	v_mul_f16_e32 v12, v78, v2
	v_and_or_b32 v13, 0x1ff, v14, v13
	v_lshrrev_b32_e32 v22, 8, v14
	v_bfe_u32 v23, v14, 20, 11
	s_wait_alu 0xfffd
	v_cndmask_b32_e64 v0, 0, 1, vcc_lo
	v_cmp_gt_i32_e32 vcc_lo, 1, v16
	v_fmac_f16_e32 v12, v77, v9
	v_mul_f16_e32 v9, v78, v9
	s_delay_alu instid0(VALU_DEP_4)
	v_lshl_or_b32 v0, v0, 9, 0x7c00
	s_wait_alu 0xfffd
	v_cndmask_b32_e32 v21, v11, v21, vcc_lo
	v_cmp_gt_i32_e32 vcc_lo, 31, v25
	v_cvt_f32_f16_e32 v11, v12
	v_fma_f16 v2, v77, v2, -v9
	v_lshrrev_b32_e32 v25, 16, v10
	v_and_b32_e32 v24, 7, v21
	s_wait_alu 0xfffd
	v_cndmask_b32_e32 v17, 0x7c00, v17, vcc_lo
	v_cmp_ne_u32_e32 vcc_lo, 0, v13
	v_cvt_f64_f32_e32 v[11:12], v11
	v_lshrrev_b32_e32 v21, 2, v21
	v_cmp_eq_u32_e64 s0, 3, v24
	v_cndmask_b32_e64 v0, v17, v0, s1
	s_wait_alu 0xfffd
	v_cndmask_b32_e64 v13, 0, 1, vcc_lo
	v_cmp_lt_i32_e32 vcc_lo, 5, v24
	v_cvt_f32_f16_e32 v2, v2
	v_and_or_b32 v0, 0x8000, v25, v0
	s_delay_alu instid0(VALU_DEP_4)
	v_and_or_b32 v13, 0xffe, v22, v13
	v_sub_nc_u32_e32 v22, 0x3f1, v23
	s_or_b32 vcc_lo, s0, vcc_lo
	v_cvt_f64_f32_e32 v[9:10], v2
	s_wait_alu 0xfffe
	v_add_co_ci_u32_e32 v17, vcc_lo, 0, v21, vcc_lo
	v_or_b32_e32 v24, 0x1000, v13
	v_med3_i32 v22, v22, 0, 13
	v_cmp_ne_u32_e32 vcc_lo, 0, v20
	v_and_or_b32 v3, 0x1ff, v4, v3
	v_lshrrev_b32_e32 v26, 8, v4
	v_bfe_u32 v27, v4, 20, 11
	v_lshrrev_b32_e32 v21, v22, v24
	s_wait_alu 0xfffd
	v_cndmask_b32_e64 v20, 0, 1, vcc_lo
	v_cmp_gt_i32_e32 vcc_lo, 31, v16
	v_and_b32_e32 v0, 0xffff, v0
	v_sub_nc_u32_e32 v2, 0x3f1, v27
	v_lshlrev_b32_e32 v22, v22, v21
	v_lshl_or_b32 v20, v20, 9, 0x7c00
	s_wait_alu 0xfffd
	v_cndmask_b32_e32 v17, 0x7c00, v17, vcc_lo
	v_cmp_ne_u32_e32 vcc_lo, 0, v3
	s_wait_alu 0xfffd
	v_cndmask_b32_e64 v3, 0, 1, vcc_lo
	v_cmp_ne_u32_e32 vcc_lo, v22, v24
	v_mul_f64_e32 v[11:12], s[10:11], v[11:12]
	s_delay_alu instid0(VALU_DEP_3) | instskip(SKIP_3) | instid1(VALU_DEP_2)
	v_and_or_b32 v24, 0xffe, v26, v3
	s_wait_alu 0xfffd
	v_cndmask_b32_e64 v22, 0, 1, vcc_lo
	v_cmp_eq_u32_e32 vcc_lo, 0x40f, v16
	v_or_b32_e32 v21, v21, v22
	s_wait_alu 0xfffd
	v_dual_cndmask_b32 v16, v17, v20 :: v_dual_add_nc_u32 v17, 0xfffffc10, v23
	v_or_b32_e32 v20, 0x1000, v24
	v_med3_i32 v23, v2, 0, 13
	ds_load_2addr_b32 v[2:3], v58 offset0:208 offset1:224
	v_mul_f64_e32 v[9:10], s[10:11], v[9:10]
	v_lshl_or_b32 v22, v17, 12, v13
	v_cmp_gt_i32_e32 vcc_lo, 1, v17
	v_lshrrev_b32_e32 v26, v23, v20
	s_wait_alu 0xfffd
	s_delay_alu instid0(VALU_DEP_3)
	v_cndmask_b32_e32 v21, v22, v21, vcc_lo
	v_lshl_or_b32 v22, v15, 16, v18
	v_and_or_b32 v15, 0x8000, v19, v16
	v_lshlrev_b32_e32 v16, v23, v26
	v_add_co_u32 v6, vcc_lo, v6, s2
	v_and_b32_e32 v18, 7, v21
	s_wait_alu 0xfffd
	v_add_co_ci_u32_e32 v7, vcc_lo, s3, v7, vcc_lo
	v_cmp_ne_u32_e64 s0, v16, v20
	v_lshl_or_b32 v0, v15, 16, v0
	v_cmp_lt_i32_e32 vcc_lo, 5, v18
	s_wait_dscnt 0x0
	v_lshrrev_b32_e32 v19, 16, v3
	v_add_nc_u32_e32 v20, 0xfffffc10, v27
	s_wait_alu 0xf1ff
	v_cndmask_b32_e64 v15, 0, 1, s0
	v_cmp_eq_u32_e64 s0, 3, v18
	v_lshrrev_b32_e32 v18, 2, v21
	v_mul_f16_e32 v16, v76, v19
	v_lshl_or_b32 v21, v20, 12, v24
	v_or_b32_e32 v15, v26, v15
	s_or_b32 vcc_lo, s0, vcc_lo
	v_and_or_b32 v11, 0x1ff, v12, v11
	s_wait_alu 0xfffe
	v_add_co_ci_u32_e32 v18, vcc_lo, 0, v18, vcc_lo
	v_cmp_gt_i32_e32 vcc_lo, 1, v20
	v_fmac_f16_e32 v16, v75, v3
	v_cmp_ne_u32_e64 s1, 0, v11
	v_bfe_u32 v25, v12, 20, 11
	v_mul_f16_e32 v3, v76, v3
	s_wait_alu 0xfffd
	v_cndmask_b32_e32 v21, v21, v15, vcc_lo
	v_cmp_ne_u32_e32 vcc_lo, 0, v13
	v_cvt_f32_f16_e32 v15, v16
	s_wait_alu 0xf1ff
	v_cndmask_b32_e64 v11, 0, 1, s1
	v_and_or_b32 v9, 0x1ff, v10, v9
	v_and_b32_e32 v23, 7, v21
	s_wait_alu 0xfffd
	v_cndmask_b32_e64 v13, 0, 1, vcc_lo
	v_cmp_gt_i32_e32 vcc_lo, 31, v17
	v_cvt_f64_f32_e32 v[15:16], v15
	v_lshrrev_b32_e32 v21, 2, v21
	v_cmp_eq_u32_e64 s0, 3, v23
	v_lshl_or_b32 v13, v13, 9, 0x7c00
	s_wait_alu 0xfffd
	v_cndmask_b32_e32 v18, 0x7c00, v18, vcc_lo
	v_cmp_lt_i32_e32 vcc_lo, 5, v23
	v_lshrrev_b32_e32 v23, 8, v12
	v_fma_f16 v3, v75, v19, -v3
	v_bfe_u32 v28, v10, 20, 11
	v_lshrrev_b32_e32 v19, 16, v4
	s_or_b32 vcc_lo, s0, vcc_lo
	v_and_or_b32 v11, 0xffe, v23, v11
	s_wait_alu 0xfffe
	v_add_co_ci_u32_e32 v21, vcc_lo, 0, v21, vcc_lo
	v_cmp_ne_u32_e32 vcc_lo, 0, v24
	v_sub_nc_u32_e32 v23, 0x3f1, v25
	v_or_b32_e32 v26, 0x1000, v11
	global_store_b32 v[6:7], v22, off
	s_wait_alu 0xfffd
	v_cndmask_b32_e64 v24, 0, 1, vcc_lo
	v_cmp_gt_i32_e32 vcc_lo, 31, v20
	v_med3_i32 v23, v23, 0, 13
	s_delay_alu instid0(VALU_DEP_3)
	v_lshl_or_b32 v24, v24, 9, 0x7c00
	s_wait_alu 0xfffd
	v_cndmask_b32_e32 v21, 0x7c00, v21, vcc_lo
	v_cmp_eq_u32_e32 vcc_lo, 0x40f, v17
	v_lshrrev_b32_e32 v27, v23, v26
	s_wait_alu 0xfffd
	v_cndmask_b32_e32 v17, v18, v13, vcc_lo
	v_cmp_eq_u32_e32 vcc_lo, 0x40f, v20
	v_lshrrev_b32_e32 v18, 16, v14
	s_wait_alu 0xfffd
	v_dual_cndmask_b32 v20, v21, v24 :: v_dual_lshlrev_b32 v21, v23, v27
	v_cmp_ne_u32_e32 vcc_lo, 0, v9
	v_cvt_f32_f16_e32 v23, v3
	v_lshrrev_b32_e32 v24, 8, v10
	ds_load_2addr_b32 v[3:4], v92 offset0:112 offset1:128
	v_mul_f64_e32 v[13:14], s[10:11], v[15:16]
	s_wait_alu 0xfffd
	v_cndmask_b32_e64 v9, 0, 1, vcc_lo
	v_cmp_ne_u32_e32 vcc_lo, v21, v26
	v_cvt_f64_f32_e32 v[15:16], v23
	v_add_nc_u32_e32 v23, 0xfffffc10, v25
	v_and_or_b32 v25, 0x8000, v18, v17
	v_and_or_b32 v9, 0xffe, v24, v9
	s_wait_alu 0xfffd
	v_cndmask_b32_e64 v21, 0, 1, vcc_lo
	v_sub_nc_u32_e32 v24, 0x3f1, v28
	v_add_co_u32 v17, vcc_lo, v6, s2
	s_wait_alu 0xfffd
	v_add_co_ci_u32_e32 v18, vcc_lo, s3, v7, vcc_lo
	v_or_b32_e32 v21, v27, v21
	v_lshl_or_b32 v26, v23, 12, v11
	v_or_b32_e32 v27, 0x1000, v9
	v_med3_i32 v24, v24, 0, 13
	v_cmp_gt_i32_e32 vcc_lo, 1, v23
	v_and_or_b32 v19, 0x8000, v19, v20
	s_wait_dscnt 0x0
	v_lshrrev_b32_e32 v20, 16, v4
	v_and_b32_e32 v25, 0xffff, v25
	global_store_b32 v[17:18], v0, off
	s_wait_alu 0xfffd
	v_cndmask_b32_e32 v21, v26, v21, vcc_lo
	v_lshrrev_b32_e32 v26, v24, v27
	v_mul_f16_e32 v6, v74, v20
	v_lshl_or_b32 v0, v19, 16, v25
	v_lshrrev_b32_e32 v10, 16, v10
	v_and_b32_e32 v7, 7, v21
	v_lshlrev_b32_e32 v22, v24, v26
	v_fmac_f16_e32 v6, v71, v4
	v_lshrrev_b32_e32 v21, 2, v21
	v_mul_f16_e32 v4, v74, v4
	v_cmp_lt_i32_e32 vcc_lo, 5, v7
	v_cmp_ne_u32_e64 s0, v22, v27
	v_cvt_f32_f16_e32 v6, v6
	v_add_nc_u32_e32 v22, 0xfffffc10, v28
	v_fma_f16 v4, v71, v20, -v4
	s_wait_alu 0xf1ff
	v_cndmask_b32_e64 v19, 0, 1, s0
	v_cmp_eq_u32_e64 s0, 3, v7
	v_cvt_f64_f32_e32 v[6:7], v6
	v_and_or_b32 v13, 0x1ff, v14, v13
	v_lshl_or_b32 v24, v22, 12, v9
	v_or_b32_e32 v19, v26, v19
	s_or_b32 vcc_lo, s0, vcc_lo
	v_mul_f64_e32 v[15:16], s[10:11], v[15:16]
	s_wait_alu 0xfffe
	v_add_co_ci_u32_e32 v21, vcc_lo, 0, v21, vcc_lo
	v_cmp_ne_u32_e32 vcc_lo, 0, v11
	v_bfe_u32 v25, v14, 20, 11
	v_cvt_f32_f16_e32 v4, v4
	s_wait_alu 0xfffd
	v_cndmask_b32_e64 v11, 0, 1, vcc_lo
	v_cmp_gt_i32_e32 vcc_lo, 1, v22
	s_delay_alu instid0(VALU_DEP_2)
	v_lshl_or_b32 v11, v11, 9, 0x7c00
	s_wait_alu 0xfffd
	v_cndmask_b32_e32 v19, v24, v19, vcc_lo
	v_cmp_ne_u32_e32 vcc_lo, 0, v13
	v_lshrrev_b32_e32 v24, 8, v14
	v_lshrrev_b32_e32 v14, 16, v14
	s_delay_alu instid0(VALU_DEP_4) | instskip(SKIP_3) | instid1(VALU_DEP_3)
	v_and_b32_e32 v26, 7, v19
	s_wait_alu 0xfffd
	v_cndmask_b32_e64 v13, 0, 1, vcc_lo
	v_cmp_gt_i32_e32 vcc_lo, 31, v23
	v_cmp_eq_u32_e64 s0, 3, v26
	s_delay_alu instid0(VALU_DEP_3)
	v_and_or_b32 v13, 0xffe, v24, v13
	s_wait_alu 0xfffd
	v_cndmask_b32_e32 v21, 0x7c00, v21, vcc_lo
	v_add_co_u32 v17, vcc_lo, v17, s2
	s_wait_alu 0xfffd
	v_add_co_ci_u32_e32 v18, vcc_lo, s3, v18, vcc_lo
	v_cmp_eq_u32_e32 vcc_lo, 0x40f, v23
	v_sub_nc_u32_e32 v24, 0x3f1, v25
	v_or_b32_e32 v23, 0x1000, v13
	global_store_b32 v[17:18], v0, off
	s_wait_alu 0xfffd
	v_cndmask_b32_e32 v21, v21, v11, vcc_lo
	v_cmp_lt_i32_e32 vcc_lo, 5, v26
	v_lshrrev_b32_e32 v11, 2, v19
	v_med3_i32 v24, v24, 0, 13
	v_lshrrev_b32_e32 v26, 16, v12
	v_cvt_f64_f32_e32 v[19:20], v4
	s_or_b32 vcc_lo, s0, vcc_lo
	s_wait_alu 0xfffe
	v_add_co_ci_u32_e32 v28, vcc_lo, 0, v11, vcc_lo
	v_cmp_ne_u32_e32 vcc_lo, 0, v9
	v_lshrrev_b32_e32 v27, v24, v23
	v_mul_f64_e32 v[11:12], s[10:11], v[6:7]
	v_and_or_b32 v9, 0x1ff, v16, v15
	v_and_or_b32 v21, 0x8000, v26, v21
	s_wait_alu 0xfffd
	v_cndmask_b32_e64 v6, 0, 1, vcc_lo
	v_lshlrev_b32_e32 v24, v24, v27
	v_cmp_gt_i32_e32 vcc_lo, 31, v22
	s_delay_alu instid0(VALU_DEP_3)
	v_lshl_or_b32 v15, v6, 9, 0x7c00
	ds_load_2addr_b32 v[6:7], v73 offset0:16 offset1:32
	s_wait_alu 0xfffd
	v_cndmask_b32_e32 v4, 0x7c00, v28, vcc_lo
	v_cmp_ne_u32_e32 vcc_lo, v24, v23
	v_add_nc_u32_e32 v24, 0xfffffc10, v25
	v_lshrrev_b32_e32 v25, 8, v16
	v_bfe_u32 v28, v16, 20, 11
	v_lshrrev_b32_e32 v16, 16, v16
	s_wait_alu 0xfffd
	v_cndmask_b32_e64 v23, 0, 1, vcc_lo
	v_cmp_ne_u32_e32 vcc_lo, 0, v9
	s_wait_alu 0xfffd
	v_cndmask_b32_e64 v9, 0, 1, vcc_lo
	v_cmp_eq_u32_e32 vcc_lo, 0x40f, v22
	v_lshl_or_b32 v22, v24, 12, v13
	s_wait_alu 0xfffd
	v_cndmask_b32_e32 v4, v4, v15, vcc_lo
	v_or_b32_e32 v15, v27, v23
	v_and_or_b32 v23, 0xffe, v25, v9
	v_sub_nc_u32_e32 v9, 0x3f1, v28
	v_cmp_gt_i32_e32 vcc_lo, 1, v24
	s_wait_dscnt 0x0
	v_lshrrev_b32_e32 v25, 16, v7
	v_and_or_b32 v4, 0x8000, v10, v4
	v_and_b32_e32 v10, 0xffff, v21
	v_med3_i32 v9, v9, 0, 13
	s_wait_alu 0xfffd
	v_cndmask_b32_e32 v15, v22, v15, vcc_lo
	v_or_b32_e32 v22, 0x1000, v23
	v_mul_f16_e32 v26, v72, v25
	v_lshl_or_b32 v4, v4, 16, v10
	v_and_or_b32 v11, 0x1ff, v12, v11
	v_and_b32_e32 v21, 7, v15
	v_lshrrev_b32_e32 v0, v9, v22
	v_fmac_f16_e32 v26, v70, v7
	v_lshrrev_b32_e32 v15, 2, v15
	v_cmp_ne_u32_e64 s1, 0, v11
	v_cmp_lt_i32_e32 vcc_lo, 5, v21
	v_cmp_eq_u32_e64 s0, 3, v21
	v_lshlrev_b32_e32 v21, v9, v0
	v_mul_f64_e32 v[9:10], s[10:11], v[19:20]
	v_cvt_f32_f16_e32 v19, v26
	s_wait_alu 0xf1ff
	v_cndmask_b32_e64 v11, 0, 1, s1
	s_or_b32 vcc_lo, s0, vcc_lo
	v_cmp_ne_u32_e64 s1, v21, v22
	v_lshrrev_b32_e32 v26, 8, v12
	v_cvt_f64_f32_e32 v[19:20], v19
	v_bfe_u32 v27, v12, 20, 11
	s_wait_alu 0xfffe
	v_add_co_ci_u32_e32 v15, vcc_lo, 0, v15, vcc_lo
	s_wait_alu 0xf1ff
	v_cndmask_b32_e64 v21, 0, 1, s1
	v_add_nc_u32_e32 v28, 0xfffffc10, v28
	v_cmp_ne_u32_e32 vcc_lo, 0, v13
	v_and_or_b32 v11, 0xffe, v26, v11
	v_sub_nc_u32_e32 v22, 0x3f1, v27
	v_or_b32_e32 v0, v0, v21
	v_lshl_or_b32 v21, v28, 12, v23
	s_wait_alu 0xfffd
	v_cndmask_b32_e64 v13, 0, 1, vcc_lo
	v_cmp_gt_i32_e32 vcc_lo, 1, v28
	v_or_b32_e32 v26, 0x1000, v11
	v_med3_i32 v22, v22, 0, 13
	v_mul_f16_e32 v7, v72, v7
	v_lshl_or_b32 v13, v13, 9, 0x7c00
	s_wait_alu 0xfffd
	v_cndmask_b32_e32 v0, v21, v0, vcc_lo
	v_add_co_u32 v17, vcc_lo, v17, s2
	v_lshrrev_b32_e32 v29, v22, v26
	s_wait_alu 0xfffd
	v_add_co_ci_u32_e32 v18, vcc_lo, s3, v18, vcc_lo
	v_cmp_gt_i32_e32 vcc_lo, 31, v24
	v_and_b32_e32 v21, 7, v0
	v_lshlrev_b32_e32 v22, v22, v29
	v_fma_f16 v7, v70, v25, -v7
	v_lshrrev_b32_e32 v0, 2, v0
	s_wait_alu 0xfffd
	v_cndmask_b32_e32 v15, 0x7c00, v15, vcc_lo
	v_cmp_lt_i32_e32 vcc_lo, 5, v21
	v_cmp_eq_u32_e64 s0, 3, v21
	global_store_b32 v[17:18], v4, off
	v_cvt_f32_f16_e32 v4, v7
	v_and_or_b32 v7, 0x1ff, v10, v9
	v_cmp_ne_u32_e64 s1, v22, v26
	s_or_b32 vcc_lo, s0, vcc_lo
	v_add_nc_u32_e32 v25, 0xfffffc10, v27
	s_wait_alu 0xfffe
	v_add_co_ci_u32_e32 v0, vcc_lo, 0, v0, vcc_lo
	v_cndmask_b32_e64 v9, 0, 1, s1
	v_cmp_ne_u32_e64 s1, 0, v7
	v_cmp_ne_u32_e32 vcc_lo, 0, v23
	v_cvt_f64_f32_e32 v[21:22], v4
	v_mul_f64_e32 v[19:20], s[10:11], v[19:20]
	v_lshrrev_b32_e32 v7, 8, v10
	s_wait_alu 0xf1ff
	v_cndmask_b32_e64 v4, 0, 1, s1
	v_bfe_u32 v26, v10, 20, 11
	v_or_b32_e32 v9, v29, v9
	v_lshl_or_b32 v27, v25, 12, v11
	s_wait_alu 0xfffd
	v_cndmask_b32_e64 v23, 0, 1, vcc_lo
	v_cmp_gt_i32_e32 vcc_lo, 1, v25
	v_and_or_b32 v4, 0xffe, v7, v4
	v_sub_nc_u32_e32 v7, 0x3f1, v26
	v_add_nc_u32_e32 v26, 0xfffffc10, v26
	v_lshl_or_b32 v23, v23, 9, 0x7c00
	s_wait_alu 0xfffd
	v_cndmask_b32_e32 v9, v27, v9, vcc_lo
	v_cmp_gt_i32_e32 vcc_lo, 31, v28
	v_or_b32_e32 v27, 0x1000, v4
	v_med3_i32 v7, v7, 0, 13
	v_lshrrev_b32_e32 v10, 16, v10
	s_wait_alu 0xfffd
	v_cndmask_b32_e32 v0, 0x7c00, v0, vcc_lo
	v_cmp_eq_u32_e32 vcc_lo, 0x40f, v24
	v_and_b32_e32 v24, 7, v9
	v_lshrrev_b32_e32 v9, 2, v9
	s_wait_alu 0xfffd
	v_cndmask_b32_e32 v13, v15, v13, vcc_lo
	v_lshrrev_b32_e32 v15, v7, v27
	v_cmp_eq_u32_e32 vcc_lo, 0x40f, v28
	v_cmp_eq_u32_e64 s0, 3, v24
	s_delay_alu instid0(VALU_DEP_4) | instskip(NEXT) | instid1(VALU_DEP_4)
	v_and_or_b32 v13, 0x8000, v14, v13
	v_lshlrev_b32_e32 v7, v7, v15
	s_wait_alu 0xfffd
	v_cndmask_b32_e32 v0, v0, v23, vcc_lo
	v_cmp_lt_i32_e32 vcc_lo, 5, v24
	v_lshrrev_b32_e32 v24, 16, v5
	v_and_b32_e32 v23, 0xffff, v13
	v_cmp_ne_u32_e64 s1, v7, v27
	v_and_or_b32 v0, 0x8000, v16, v0
	s_or_b32 vcc_lo, s0, vcc_lo
	v_mul_f64_e32 v[13:14], s[10:11], v[21:22]
	s_wait_alu 0xfffe
	v_add_co_ci_u32_e32 v9, vcc_lo, 0, v9, vcc_lo
	v_cndmask_b32_e64 v7, 0, 1, s1
	v_and_or_b32 v16, 0x1ff, v20, v19
	v_lshl_or_b32 v19, v26, 12, v4
	v_cmp_gt_i32_e32 vcc_lo, 1, v26
	v_bfe_u32 v21, v20, 20, 11
	v_or_b32_e32 v7, v15, v7
	v_mul_f16_e32 v15, v69, v24
	v_cmp_eq_u32_e64 s1, 0x40f, v25
	v_lshl_or_b32 v23, v0, 16, v23
	v_sub_nc_u32_e32 v27, 0x3f1, v21
	s_wait_alu 0xfffd
	v_cndmask_b32_e32 v7, v19, v7, vcc_lo
	v_cmp_ne_u32_e32 vcc_lo, 0, v16
	v_fmac_f16_e32 v15, v68, v5
	v_lshrrev_b32_e32 v19, 8, v20
	v_med3_i32 v27, v27, 0, 13
	v_and_b32_e32 v22, 7, v7
	s_wait_alu 0xfffd
	v_cndmask_b32_e64 v16, 0, 1, vcc_lo
	v_cmp_ne_u32_e32 vcc_lo, 0, v11
	v_cvt_f32_f16_e32 v15, v15
	v_lshrrev_b32_e32 v7, 2, v7
	v_cmp_eq_u32_e64 s0, 3, v22
	v_and_or_b32 v19, 0xffe, v19, v16
	s_wait_alu 0xfffd
	v_cndmask_b32_e64 v11, 0, 1, vcc_lo
	v_cmp_gt_i32_e32 vcc_lo, 31, v25
	v_cvt_f64_f32_e32 v[15:16], v15
	v_mul_f16_e32 v5, v69, v5
	v_or_b32_e32 v28, 0x1000, v19
	v_lshl_or_b32 v11, v11, 9, 0x7c00
	s_wait_alu 0xfffd
	v_cndmask_b32_e32 v9, 0x7c00, v9, vcc_lo
	v_cmp_lt_i32_e32 vcc_lo, 5, v22
	v_fma_f16 v5, v68, v24, -v5
	v_lshrrev_b32_e32 v24, 16, v12
	v_add_nc_u32_e32 v21, 0xfffffc10, v21
	s_wait_alu 0xf1ff
	v_cndmask_b32_e64 v9, v9, v11, s1
	s_or_b32 vcc_lo, s0, vcc_lo
	v_lshrrev_b32_e32 v11, v27, v28
	s_wait_alu 0xfffe
	v_add_co_ci_u32_e32 v7, vcc_lo, 0, v7, vcc_lo
	v_cmp_ne_u32_e32 vcc_lo, 0, v4
	v_and_or_b32 v13, 0x1ff, v14, v13
	v_lshlrev_b32_e32 v4, v27, v11
	v_cvt_f32_f16_e32 v5, v5
	v_lshrrev_b32_e32 v25, 8, v14
	s_wait_alu 0xfffd
	v_cndmask_b32_e64 v22, 0, 1, vcc_lo
	v_cmp_gt_i32_e32 vcc_lo, 31, v26
	v_bfe_u32 v27, v14, 20, 11
	v_lshl_or_b32 v29, v21, 12, v19
	v_and_or_b32 v9, 0x8000, v24, v9
	v_lshl_or_b32 v22, v22, 9, 0x7c00
	s_wait_alu 0xfffd
	v_cndmask_b32_e32 v7, 0x7c00, v7, vcc_lo
	v_cmp_ne_u32_e32 vcc_lo, v4, v28
	v_cvt_f64_f32_e32 v[4:5], v5
	s_wait_alu 0xfffd
	v_cndmask_b32_e64 v12, 0, 1, vcc_lo
	v_cmp_ne_u32_e32 vcc_lo, 0, v13
	s_delay_alu instid0(VALU_DEP_2) | instskip(SKIP_4) | instid1(VALU_DEP_3)
	v_or_b32_e32 v28, v11, v12
	s_wait_alu 0xfffd
	v_cndmask_b32_e64 v13, 0, 1, vcc_lo
	v_cmp_gt_i32_e32 vcc_lo, 1, v21
	v_mul_f64_e32 v[11:12], s[10:11], v[15:16]
	v_and_or_b32 v13, 0xffe, v25, v13
	v_sub_nc_u32_e32 v25, 0x3f1, v27
	s_wait_alu 0xfffd
	v_cndmask_b32_e32 v15, v29, v28, vcc_lo
	v_cmp_eq_u32_e32 vcc_lo, 0x40f, v26
	v_or_b32_e32 v16, 0x1000, v13
	v_med3_i32 v25, v25, 0, 13
	s_wait_alu 0xfffd
	v_dual_cndmask_b32 v7, v7, v22 :: v_dual_and_b32 v22, 7, v15
	s_delay_alu instid0(VALU_DEP_2) | instskip(NEXT) | instid1(VALU_DEP_2)
	v_lshrrev_b32_e32 v24, v25, v16
	v_and_or_b32 v0, 0x8000, v10, v7
	s_delay_alu instid0(VALU_DEP_3)
	v_cmp_lt_i32_e32 vcc_lo, 5, v22
	v_cmp_eq_u32_e64 s0, 3, v22
	v_lshrrev_b32_e32 v7, 2, v15
	v_lshlrev_b32_e32 v10, v25, v24
	v_and_b32_e32 v15, 0xffff, v9
	v_add_nc_u32_e32 v22, 0xfffffc10, v27
	s_or_b32 vcc_lo, s0, vcc_lo
	s_wait_alu 0xfffe
	v_add_co_ci_u32_e32 v7, vcc_lo, 0, v7, vcc_lo
	v_cmp_ne_u32_e32 vcc_lo, v10, v16
	v_lshl_or_b32 v25, v22, 12, v13
	v_mul_f64_e32 v[4:5], s[10:11], v[4:5]
	s_wait_alu 0xfffd
	v_cndmask_b32_e64 v9, 0, 1, vcc_lo
	v_cmp_ne_u32_e32 vcc_lo, 0, v19
	v_lshrrev_b32_e32 v19, 16, v1
	s_delay_alu instid0(VALU_DEP_3)
	v_or_b32_e32 v24, v24, v9
	s_wait_alu 0xfffd
	v_cndmask_b32_e64 v16, 0, 1, vcc_lo
	v_add_co_u32 v9, vcc_lo, v17, s2
	s_wait_alu 0xfffd
	v_add_co_ci_u32_e32 v10, vcc_lo, s3, v18, vcc_lo
	v_cmp_gt_i32_e32 vcc_lo, 1, v22
	v_mul_f16_e32 v17, v67, v19
	v_lshl_or_b32 v16, v16, 9, 0x7c00
	v_and_or_b32 v11, 0x1ff, v12, v11
	s_wait_alu 0xfffd
	v_cndmask_b32_e32 v18, v25, v24, vcc_lo
	v_cmp_gt_i32_e32 vcc_lo, 31, v21
	v_fmac_f16_e32 v17, v66, v1
	v_lshl_or_b32 v25, v0, 16, v15
	v_mul_f16_e32 v1, v67, v1
	s_wait_alu 0xfffd
	v_dual_cndmask_b32 v7, 0x7c00, v7 :: v_dual_and_b32 v24, 7, v18
	v_cmp_eq_u32_e32 vcc_lo, 0x40f, v21
	v_cvt_f32_f16_e32 v0, v17
	v_lshrrev_b32_e32 v17, 8, v12
	s_delay_alu instid0(VALU_DEP_4)
	v_cmp_eq_u32_e64 s0, 3, v24
	v_bfe_u32 v21, v12, 20, 11
	s_wait_alu 0xfffd
	v_cndmask_b32_e32 v7, v7, v16, vcc_lo
	v_cmp_ne_u32_e32 vcc_lo, 0, v11
	v_cvt_f64_f32_e32 v[15:16], v0
	v_lshrrev_b32_e32 v0, 2, v18
	v_fma_f16 v1, v66, v19, -v1
	v_lshrrev_b32_e32 v19, 16, v20
	s_wait_alu 0xfffd
	v_cndmask_b32_e64 v11, 0, 1, vcc_lo
	v_cmp_lt_i32_e32 vcc_lo, 5, v24
	v_and_or_b32 v4, 0x1ff, v5, v4
	v_cvt_f32_f16_e32 v1, v1
	v_and_or_b32 v7, 0x8000, v19, v7
	v_and_or_b32 v11, 0xffe, v17, v11
	s_or_b32 vcc_lo, s0, vcc_lo
	v_sub_nc_u32_e32 v17, 0x3f1, v21
	s_wait_alu 0xfffe
	v_add_co_ci_u32_e32 v0, vcc_lo, 0, v0, vcc_lo
	v_cmp_ne_u32_e32 vcc_lo, 0, v13
	v_or_b32_e32 v18, 0x1000, v11
	v_med3_i32 v17, v17, 0, 13
	v_add_nc_u32_e32 v21, 0xfffffc10, v21
	v_and_b32_e32 v7, 0xffff, v7
	s_wait_alu 0xfffd
	v_cndmask_b32_e64 v13, 0, 1, vcc_lo
	v_cmp_gt_i32_e32 vcc_lo, 31, v22
	v_lshrrev_b32_e32 v20, v17, v18
	v_lshl_or_b32 v26, v21, 12, v11
	v_cmp_eq_u32_e64 s1, 0x40f, v21
	v_lshl_or_b32 v13, v13, 9, 0x7c00
	s_wait_alu 0xfffd
	v_cndmask_b32_e32 v24, 0x7c00, v0, vcc_lo
	v_cvt_f64_f32_e32 v[0:1], v1
	v_cmp_eq_u32_e32 vcc_lo, 0x40f, v22
	v_lshlrev_b32_e32 v17, v17, v20
	v_bfe_u32 v22, v5, 20, 11
	v_lshrrev_b32_e32 v12, 16, v12
	s_wait_alu 0xfffd
	v_cndmask_b32_e32 v19, v24, v13, vcc_lo
	v_cmp_ne_u32_e32 vcc_lo, 0, v4
	v_lshrrev_b32_e32 v13, 8, v5
	v_lshrrev_b32_e32 v24, 16, v14
	;; [unrolled: 1-line block ×3, first 2 shown]
	s_wait_alu 0xfffd
	v_cndmask_b32_e64 v4, 0, 1, vcc_lo
	v_cmp_ne_u32_e32 vcc_lo, v17, v18
	v_sub_nc_u32_e32 v18, 0x3f1, v22
	v_and_or_b32 v19, 0x8000, v24, v19
	s_delay_alu instid0(VALU_DEP_4)
	v_and_or_b32 v4, 0xffe, v13, v4
	v_mul_f64_e32 v[13:14], s[10:11], v[15:16]
	s_wait_alu 0xfffd
	v_cndmask_b32_e64 v17, 0, 1, vcc_lo
	v_med3_i32 v28, v18, 0, 13
	ds_load_2addr_b32 v[15:16], v58 offset0:80 offset1:112
	v_or_b32_e32 v27, 0x1000, v4
	v_lshl_or_b32 v7, v19, 16, v7
	v_or_b32_e32 v20, v20, v17
	v_add_co_u32 v17, vcc_lo, v9, s2
	s_wait_alu 0xfffd
	v_add_co_ci_u32_e32 v18, vcc_lo, s3, v10, vcc_lo
	v_cmp_gt_i32_e32 vcc_lo, 1, v21
	v_lshrrev_b32_e32 v24, v28, v27
	global_store_b32 v[9:10], v23, off
	global_store_b32 v[17:18], v25, off
	s_wait_alu 0xfffd
	v_cndmask_b32_e32 v20, v26, v20, vcc_lo
	v_lshlrev_b32_e32 v23, v28, v24
	v_add_co_u32 v9, vcc_lo, v17, s2
	s_wait_alu 0xfffd
	v_add_co_ci_u32_e32 v10, vcc_lo, s3, v18, vcc_lo
	v_and_b32_e32 v19, 7, v20
	v_cmp_ne_u32_e64 s0, v23, v27
	v_mul_f64_e32 v[17:18], s[10:11], v[0:1]
	s_wait_dscnt 0x0
	v_lshrrev_b32_e32 v25, 16, v15
	v_add_nc_u32_e32 v23, 0xfffffc10, v22
	v_cmp_lt_i32_e32 vcc_lo, 5, v19
	s_wait_alu 0xf1ff
	v_cndmask_b32_e64 v0, 0, 1, s0
	v_cmp_eq_u32_e64 s0, 3, v19
	v_lshrrev_b32_e32 v19, 2, v20
	v_mul_f16_e32 v1, v65, v25
	v_lshl_or_b32 v20, v23, 12, v4
	v_or_b32_e32 v0, v24, v0
	s_or_b32 vcc_lo, s0, vcc_lo
	global_store_b32 v[9:10], v7, off
	s_wait_alu 0xfffe
	v_add_co_ci_u32_e32 v19, vcc_lo, 0, v19, vcc_lo
	v_cmp_gt_i32_e32 vcc_lo, 1, v23
	v_fmac_f16_e32 v1, v64, v15
	v_and_or_b32 v13, 0x1ff, v14, v13
	v_lshrrev_b32_e32 v22, 8, v14
	v_bfe_u32 v24, v14, 20, 11
	s_wait_alu 0xfffd
	v_cndmask_b32_e32 v20, v20, v0, vcc_lo
	v_cmp_ne_u32_e32 vcc_lo, 0, v11
	v_cvt_f32_f16_e32 v1, v1
	v_mul_f16_e32 v15, v65, v15
	v_lshrrev_b32_e32 v14, 16, v14
	v_and_b32_e32 v26, 7, v20
	s_wait_alu 0xfffd
	v_cndmask_b32_e64 v11, 0, 1, vcc_lo
	v_cmp_ne_u32_e32 vcc_lo, 0, v13
	v_cvt_f64_f32_e32 v[0:1], v1
	v_fma_f16 v15, v64, v25, -v15
	v_cmp_eq_u32_e64 s0, 3, v26
	v_lshl_or_b32 v11, v11, 9, 0x7c00
	s_wait_alu 0xfffd
	v_cndmask_b32_e64 v13, 0, 1, vcc_lo
	v_cmp_gt_i32_e32 vcc_lo, 31, v21
	v_cvt_f32_f16_e32 v15, v15
	s_delay_alu instid0(VALU_DEP_3)
	v_and_or_b32 v27, 0xffe, v22, v13
	s_wait_alu 0xfffd
	v_cndmask_b32_e32 v19, 0x7c00, v19, vcc_lo
	v_sub_nc_u32_e32 v13, 0x3f1, v24
	v_cmp_lt_i32_e32 vcc_lo, 5, v26
	v_and_or_b32 v17, 0x1ff, v18, v17
	v_or_b32_e32 v22, 0x1000, v27
	v_cndmask_b32_e64 v11, v19, v11, s1
	v_lshrrev_b32_e32 v19, 2, v20
	v_med3_i32 v13, v13, 0, 13
	s_or_b32 vcc_lo, s0, vcc_lo
	v_lshrrev_b32_e32 v21, 8, v18
	v_bfe_u32 v28, v18, 20, 11
	s_wait_alu 0xfffe
	v_add_co_ci_u32_e32 v25, vcc_lo, 0, v19, vcc_lo
	v_lshrrev_b32_e32 v26, v13, v22
	v_cmp_ne_u32_e32 vcc_lo, 0, v17
	v_cvt_f64_f32_e32 v[19:20], v15
	v_add_nc_u32_e32 v24, 0xfffffc10, v24
	v_and_or_b32 v11, 0x8000, v12, v11
	v_lshlrev_b32_e32 v13, v13, v26
	s_wait_alu 0xfffd
	v_cndmask_b32_e64 v17, 0, 1, vcc_lo
	v_cmp_ne_u32_e32 vcc_lo, 0, v4
	v_cmp_eq_u32_e64 s1, 0x40f, v24
	v_lshrrev_b32_e32 v18, 16, v18
	s_delay_alu instid0(VALU_DEP_4)
	v_and_or_b32 v15, 0xffe, v21, v17
	s_wait_alu 0xfffd
	v_cndmask_b32_e64 v4, 0, 1, vcc_lo
	v_cmp_ne_u32_e32 vcc_lo, v13, v22
	v_sub_nc_u32_e32 v17, 0x3f1, v28
	v_mul_f64_e32 v[21:22], s[10:11], v[0:1]
	v_or_b32_e32 v0, 0x1000, v15
	v_lshl_or_b32 v4, v4, 9, 0x7c00
	s_wait_alu 0xfffd
	v_cndmask_b32_e64 v13, 0, 1, vcc_lo
	v_cmp_gt_i32_e32 vcc_lo, 31, v23
	v_med3_i32 v1, v17, 0, 13
	s_delay_alu instid0(VALU_DEP_3)
	v_or_b32_e32 v13, v26, v13
	s_wait_alu 0xfffd
	v_cndmask_b32_e32 v17, 0x7c00, v25, vcc_lo
	v_cmp_eq_u32_e32 vcc_lo, 0x40f, v23
	v_lshl_or_b32 v25, v24, 12, v27
	v_lshrrev_b32_e32 v26, v1, v0
	v_and_b32_e32 v23, 0xffff, v11
	v_mad_co_u64_u32 v[10:11], null, 0xfffffbc0, s8, v[9:10]
	s_wait_alu 0xfffd
	v_cndmask_b32_e32 v4, v17, v4, vcc_lo
	v_cmp_gt_i32_e32 vcc_lo, 1, v24
	v_lshlrev_b32_e32 v1, v1, v26
	v_add_nc_u32_e32 v9, 0xfffffc10, v28
	s_delay_alu instid0(VALU_DEP_4)
	v_and_or_b32 v17, 0x8000, v5, v4
	s_wait_alu 0xfffd
	v_cndmask_b32_e32 v13, v25, v13, vcc_lo
	v_cmp_ne_u32_e64 s0, v1, v0
	v_lshrrev_b32_e32 v4, 16, v16
	v_lshl_or_b32 v5, v9, 12, v15
	s_delay_alu instid0(VALU_DEP_4)
	v_and_b32_e32 v7, 7, v13
	s_wait_alu 0xf1ff
	v_cndmask_b32_e64 v0, 0, 1, s0
	v_lshrrev_b32_e32 v1, 2, v13
	v_mul_f64_e32 v[12:13], s[10:11], v[19:20]
	v_cmp_lt_i32_e32 vcc_lo, 5, v7
	v_cmp_eq_u32_e64 s0, 3, v7
	v_or_b32_e32 v0, v26, v0
	v_mul_f16_e32 v7, v63, v4
	s_delay_alu instid0(VALU_DEP_3)
	s_or_b32 vcc_lo, s0, vcc_lo
	v_and_or_b32 v19, 0x1ff, v22, v21
	s_wait_alu 0xfffe
	v_add_co_ci_u32_e32 v1, vcc_lo, 0, v1, vcc_lo
	v_cmp_gt_i32_e32 vcc_lo, 1, v9
	v_fmac_f16_e32 v7, v62, v16
	v_lshrrev_b32_e32 v25, 8, v22
	v_bfe_u32 v26, v22, 20, 11
	v_mul_f16_e32 v16, v63, v16
	s_wait_alu 0xfffd
	v_cndmask_b32_e32 v5, v5, v0, vcc_lo
	v_cmp_ne_u32_e32 vcc_lo, 0, v27
	v_cvt_f32_f16_e32 v0, v7
	v_fma_f16 v4, v62, v4, -v16
	s_delay_alu instid0(VALU_DEP_4)
	v_and_b32_e32 v21, 7, v5
	s_wait_alu 0xfffd
	v_cndmask_b32_e64 v20, 0, 1, vcc_lo
	v_cmp_gt_i32_e32 vcc_lo, 31, v24
	v_lshrrev_b32_e32 v5, 2, v5
	v_cvt_f32_f16_e32 v4, v4
	v_cmp_eq_u32_e64 s0, 3, v21
	v_lshl_or_b32 v20, v20, 9, 0x7c00
	s_wait_alu 0xfffd
	v_cndmask_b32_e32 v7, 0x7c00, v1, vcc_lo
	v_cmp_ne_u32_e32 vcc_lo, 0, v19
	v_cvt_f64_f32_e32 v[0:1], v0
	s_delay_alu instid0(VALU_DEP_3)
	v_cndmask_b32_e64 v7, v7, v20, s1
	s_wait_alu 0xfffd
	v_cndmask_b32_e64 v19, 0, 1, vcc_lo
	v_cmp_lt_i32_e32 vcc_lo, 5, v21
	v_sub_nc_u32_e32 v21, 0x3f1, v26
	v_and_or_b32 v12, 0x1ff, v13, v12
	v_bfe_u32 v27, v13, 20, 11
	v_and_or_b32 v19, 0xffe, v25, v19
	s_or_b32 vcc_lo, s0, vcc_lo
	v_med3_i32 v21, v21, 0, 13
	s_wait_alu 0xfffe
	v_add_co_ci_u32_e32 v5, vcc_lo, 0, v5, vcc_lo
	v_cmp_ne_u32_e32 vcc_lo, 0, v15
	v_or_b32_e32 v20, 0x1000, v19
	v_lshrrev_b32_e32 v25, 8, v13
	v_and_or_b32 v7, 0x8000, v14, v7
	s_sub_co_i32 s0, s4, s8
	s_wait_alu 0xfffd
	v_cndmask_b32_e64 v15, 0, 1, vcc_lo
	v_cmp_gt_i32_e32 vcc_lo, 31, v9
	v_lshrrev_b32_e32 v16, v21, v20
	v_and_b32_e32 v7, 0xffff, v7
	s_wait_alu 0xfffe
	v_add_nc_u32_e32 v11, s0, v11
	v_lshl_or_b32 v15, v15, 9, 0x7c00
	s_wait_alu 0xfffd
	v_cndmask_b32_e32 v24, 0x7c00, v5, vcc_lo
	v_cmp_ne_u32_e32 vcc_lo, 0, v12
	v_lshlrev_b32_e32 v21, v21, v16
	v_cvt_f64_f32_e32 v[4:5], v4
	s_wait_alu 0xfffd
	v_cndmask_b32_e64 v12, 0, 1, vcc_lo
	v_cmp_eq_u32_e32 vcc_lo, 0x40f, v9
	s_delay_alu instid0(VALU_DEP_2)
	v_and_or_b32 v12, 0xffe, v25, v12
	s_wait_alu 0xfffd
	v_cndmask_b32_e32 v9, v24, v15, vcc_lo
	v_cmp_ne_u32_e32 vcc_lo, v21, v20
	v_add_nc_u32_e32 v20, 0xfffffc10, v26
	v_sub_nc_u32_e32 v21, 0x3f1, v27
	v_mul_f64_e32 v[0:1], s[10:11], v[0:1]
	v_or_b32_e32 v24, 0x1000, v12
	s_wait_alu 0xfffd
	v_cndmask_b32_e64 v15, 0, 1, vcc_lo
	v_cmp_gt_i32_e32 vcc_lo, 1, v20
	v_med3_i32 v21, v21, 0, 13
	v_and_or_b32 v9, 0x8000, v18, v9
	v_lshl_or_b32 v18, v17, 16, v23
	v_or_b32_e32 v15, v16, v15
	v_lshl_or_b32 v16, v20, 12, v19
	v_cmp_eq_u32_e64 s1, 0x40f, v20
	v_lshl_or_b32 v23, v9, 16, v7
	s_wait_alu 0xfffd
	s_delay_alu instid0(VALU_DEP_3) | instskip(SKIP_1) | instid1(VALU_DEP_2)
	v_cndmask_b32_e32 v14, v16, v15, vcc_lo
	v_lshrrev_b32_e32 v15, v21, v24
	v_and_b32_e32 v16, 7, v14
	s_delay_alu instid0(VALU_DEP_2) | instskip(SKIP_2) | instid1(VALU_DEP_4)
	v_lshlrev_b32_e32 v17, v21, v15
	v_lshrrev_b32_e32 v21, 16, v8
	v_lshrrev_b32_e32 v14, 2, v14
	v_cmp_lt_i32_e32 vcc_lo, 5, v16
	s_delay_alu instid0(VALU_DEP_4) | instskip(NEXT) | instid1(VALU_DEP_4)
	v_cmp_ne_u32_e64 s0, v17, v24
	v_mul_f16_e32 v9, v61, v21
	v_add_nc_u32_e32 v24, 0xfffffc10, v27
	v_mul_f64_e32 v[4:5], s[10:11], v[4:5]
	s_wait_alu 0xf1ff
	v_cndmask_b32_e64 v7, 0, 1, s0
	v_cmp_eq_u32_e64 s0, 3, v16
	v_fmac_f16_e32 v9, v59, v8
	v_mul_f16_e32 v8, v61, v8
	s_delay_alu instid0(VALU_DEP_4) | instskip(NEXT) | instid1(VALU_DEP_4)
	v_or_b32_e32 v7, v15, v7
	s_or_b32 vcc_lo, s0, vcc_lo
	v_lshl_or_b32 v15, v24, 12, v12
	s_wait_alu 0xfffe
	v_add_co_ci_u32_e32 v16, vcc_lo, 0, v14, vcc_lo
	v_cmp_gt_i32_e32 vcc_lo, 1, v24
	v_cvt_f32_f16_e32 v9, v9
	v_and_or_b32 v0, 0x1ff, v1, v0
	v_fma_f16 v8, v59, v21, -v8
	v_bfe_u32 v25, v1, 20, 11
	s_wait_alu 0xfffd
	v_cndmask_b32_e32 v7, v15, v7, vcc_lo
	v_cvt_f64_f32_e32 v[14:15], v9
	v_cmp_ne_u32_e32 vcc_lo, 0, v19
	v_cmp_ne_u32_e64 s0, 0, v0
	v_cvt_f32_f16_e32 v8, v8
	v_and_b32_e32 v19, 7, v7
	v_lshrrev_b32_e32 v7, 2, v7
	s_wait_alu 0xfffd
	v_cndmask_b32_e64 v17, 0, 1, vcc_lo
	v_cmp_gt_i32_e32 vcc_lo, 31, v20
	s_wait_alu 0xf1ff
	v_cndmask_b32_e64 v0, 0, 1, s0
	v_cmp_eq_u32_e64 s0, 3, v19
	s_wait_alu 0xfffd
	v_cndmask_b32_e32 v9, 0x7c00, v16, vcc_lo
	v_cmp_lt_i32_e32 vcc_lo, 5, v19
	v_lshl_or_b32 v16, v17, 9, 0x7c00
	v_lshrrev_b32_e32 v17, 8, v1
	v_lshrrev_b32_e32 v1, 16, v1
	s_or_b32 vcc_lo, s0, vcc_lo
	s_delay_alu instid0(VALU_DEP_3)
	v_cndmask_b32_e64 v16, v9, v16, s1
	s_wait_alu 0xfffe
	v_add_co_ci_u32_e32 v7, vcc_lo, 0, v7, vcc_lo
	v_cmp_ne_u32_e32 vcc_lo, 0, v12
	v_and_or_b32 v9, 0xffe, v17, v0
	v_lshrrev_b32_e32 v17, 16, v22
	v_sub_nc_u32_e32 v0, 0x3f1, v25
	v_and_or_b32 v4, 0x1ff, v5, v4
	s_wait_alu 0xfffd
	v_cndmask_b32_e64 v12, 0, 1, vcc_lo
	v_cmp_gt_i32_e32 vcc_lo, 31, v24
	v_and_or_b32 v21, 0x8000, v17, v16
	v_cvt_f64_f32_e32 v[16:17], v8
	v_or_b32_e32 v19, 0x1000, v9
	v_lshl_or_b32 v12, v12, 9, 0x7c00
	s_wait_alu 0xfffd
	v_cndmask_b32_e32 v7, 0x7c00, v7, vcc_lo
	v_cmp_eq_u32_e32 vcc_lo, 0x40f, v24
	v_med3_i32 v0, v0, 0, 13
	v_add_nc_u32_e32 v24, 0xfffffc10, v25
	s_wait_alu 0xfffd
	v_dual_cndmask_b32 v22, v7, v12 :: v_dual_and_b32 v21, 0xffff, v21
	v_mul_f64_e32 v[7:8], s[10:11], v[14:15]
	v_lshrrev_b32_e32 v20, v0, v19
	v_cmp_ne_u32_e32 vcc_lo, 0, v4
	v_lshrrev_b32_e32 v12, 8, v5
	v_bfe_u32 v14, v5, 20, 11
	v_lshrrev_b32_e32 v15, 16, v13
	v_lshlrev_b32_e32 v0, v0, v20
	s_wait_alu 0xfffd
	v_cndmask_b32_e64 v4, 0, 1, vcc_lo
	v_lshrrev_b32_e32 v5, 16, v5
	v_and_or_b32 v15, 0x8000, v15, v22
	v_cmp_ne_u32_e32 vcc_lo, v0, v19
	ds_load_b32 v19, v60 offset:704
	v_and_or_b32 v4, 0xffe, v12, v4
	v_sub_nc_u32_e32 v12, 0x3f1, v14
	s_wait_alu 0xfffd
	v_cndmask_b32_e64 v0, 0, 1, vcc_lo
	s_delay_alu instid0(VALU_DEP_3) | instskip(NEXT) | instid1(VALU_DEP_3)
	v_or_b32_e32 v25, 0x1000, v4
	v_med3_i32 v26, v12, 0, 13
	v_add_co_u32 v12, vcc_lo, v10, s2
	s_wait_alu 0xfffd
	v_add_co_ci_u32_e32 v13, vcc_lo, s3, v11, vcc_lo
	v_or_b32_e32 v0, v20, v0
	v_lshl_or_b32 v20, v24, 12, v9
	v_cmp_gt_i32_e32 vcc_lo, 1, v24
	v_lshrrev_b32_e32 v22, v26, v25
	global_store_b32 v[10:11], v18, off
	global_store_b32 v[12:13], v23, off
	v_lshl_or_b32 v18, v15, 16, v21
	s_wait_alu 0xfffd
	v_cndmask_b32_e32 v20, v20, v0, vcc_lo
	v_add_co_u32 v10, vcc_lo, v12, s2
	v_lshlrev_b32_e32 v21, v26, v22
	s_wait_dscnt 0x0
	v_lshrrev_b32_e32 v23, 16, v19
	s_wait_alu 0xfffd
	v_add_co_ci_u32_e32 v11, vcc_lo, s3, v13, vcc_lo
	v_mul_f64_e32 v[12:13], s[10:11], v[16:17]
	v_cmp_ne_u32_e64 s0, v21, v25
	v_mul_f16_e32 v26, v57, v23
	v_and_or_b32 v7, 0x1ff, v8, v7
	v_and_b32_e32 v15, 7, v20
	v_add_nc_u32_e32 v21, 0xfffffc10, v14
	s_wait_alu 0xf1ff
	v_cndmask_b32_e64 v16, 0, 1, s0
	v_fmac_f16_e32 v26, v55, v19
	v_cmp_ne_u32_e64 s1, 0, v7
	v_cmp_lt_i32_e32 vcc_lo, 5, v15
	v_cmp_eq_u32_e64 s0, 3, v15
	v_lshrrev_b32_e32 v17, 2, v20
	v_or_b32_e32 v16, v22, v16
	v_cvt_f32_f16_e32 v14, v26
	v_lshl_or_b32 v20, v21, 12, v4
	s_wait_alu 0xf1ff
	v_cndmask_b32_e64 v7, 0, 1, s1
	v_cmp_gt_i32_e64 s1, 1, v21
	s_or_b32 vcc_lo, s0, vcc_lo
	v_lshrrev_b32_e32 v22, 8, v8
	s_wait_alu 0xfffe
	v_add_co_ci_u32_e32 v17, vcc_lo, 0, v17, vcc_lo
	v_cvt_f64_f32_e32 v[14:15], v14
	v_cndmask_b32_e64 v16, v20, v16, s1
	v_cmp_ne_u32_e32 vcc_lo, 0, v9
	v_bfe_u32 v25, v8, 20, 11
	v_and_or_b32 v7, 0xffe, v22, v7
	global_store_b32 v[10:11], v18, off
	v_and_b32_e32 v22, 7, v16
	s_wait_alu 0xfffd
	v_cndmask_b32_e64 v9, 0, 1, vcc_lo
	v_cmp_gt_i32_e32 vcc_lo, 31, v24
	v_sub_nc_u32_e32 v20, 0x3f1, v25
	v_lshrrev_b32_e32 v16, 2, v16
	v_cmp_eq_u32_e64 s0, 3, v22
	v_or_b32_e32 v26, 0x1000, v7
	s_wait_alu 0xfffd
	v_cndmask_b32_e32 v27, 0x7c00, v17, vcc_lo
	v_cmp_lt_i32_e32 vcc_lo, 5, v22
	v_med3_i32 v20, v20, 0, 13
	v_mul_f16_e32 v17, v57, v19
	v_and_or_b32 v12, 0x1ff, v13, v12
	v_bfe_u32 v28, v13, 20, 11
	s_or_b32 vcc_lo, s0, vcc_lo
	v_lshrrev_b32_e32 v19, v20, v26
	s_wait_alu 0xfffe
	v_add_co_ci_u32_e32 v16, vcc_lo, 0, v16, vcc_lo
	v_cmp_gt_i32_e32 vcc_lo, 31, v21
	v_fma_f16 v17, v55, v23, -v17
	v_lshlrev_b32_e32 v20, v20, v19
	v_lshrrev_b32_e32 v23, 8, v13
	v_lshl_or_b32 v9, v9, 9, 0x7c00
	s_wait_alu 0xfffd
	v_cndmask_b32_e32 v22, 0x7c00, v16, vcc_lo
	v_cmp_ne_u32_e32 vcc_lo, 0, v12
	v_cvt_f32_f16_e32 v17, v17
	v_add_nc_u32_e32 v25, 0xfffffc10, v25
	v_lshrrev_b32_e32 v13, 16, v13
	ds_load_b32 v0, v58 offset:1216
	s_wait_alu 0xfffd
	v_cndmask_b32_e64 v12, 0, 1, vcc_lo
	v_cmp_ne_u32_e32 vcc_lo, v20, v26
	v_cvt_f64_f32_e32 v[16:17], v17
	v_lshl_or_b32 v26, v25, 12, v7
	v_mul_f64_e32 v[14:15], s[10:11], v[14:15]
	v_and_or_b32 v12, 0xffe, v23, v12
	s_wait_alu 0xfffd
	v_cndmask_b32_e64 v20, 0, 1, vcc_lo
	v_cmp_ne_u32_e32 vcc_lo, 0, v4
	v_sub_nc_u32_e32 v23, 0x3f1, v28
	s_delay_alu instid0(VALU_DEP_3)
	v_or_b32_e32 v19, v19, v20
	s_wait_alu 0xfffd
	v_cndmask_b32_e64 v4, 0, 1, vcc_lo
	v_cmp_eq_u32_e32 vcc_lo, 0x40f, v24
	v_or_b32_e32 v20, 0x1000, v12
	v_med3_i32 v23, v23, 0, 13
	s_delay_alu instid0(VALU_DEP_4) | instskip(SKIP_4) | instid1(VALU_DEP_3)
	v_lshl_or_b32 v4, v4, 9, 0x7c00
	s_wait_alu 0xfffd
	v_cndmask_b32_e32 v9, v27, v9, vcc_lo
	v_cmp_gt_i32_e32 vcc_lo, 1, v25
	v_lshrrev_b32_e32 v24, v23, v20
	v_and_or_b32 v1, 0x8000, v1, v9
	s_wait_alu 0xfffd
	v_cndmask_b32_e32 v19, v26, v19, vcc_lo
	v_cmp_eq_u32_e32 vcc_lo, 0x40f, v21
	s_delay_alu instid0(VALU_DEP_3) | instskip(SKIP_1) | instid1(VALU_DEP_3)
	v_and_b32_e32 v18, 0xffff, v1
	s_wait_alu 0xfffd
	v_dual_cndmask_b32 v4, v22, v4 :: v_dual_and_b32 v21, 7, v19
	v_lshlrev_b32_e32 v22, v23, v24
	v_lshrrev_b32_e32 v1, 2, v19
	s_delay_alu instid0(VALU_DEP_3) | instskip(SKIP_1) | instid1(VALU_DEP_4)
	v_cmp_lt_i32_e32 vcc_lo, 5, v21
	v_cmp_eq_u32_e64 s0, 3, v21
	v_cmp_ne_u32_e64 s1, v22, v20
	v_add_nc_u32_e32 v20, 0xfffffc10, v28
	v_and_or_b32 v9, 0x8000, v5, v4
	s_delay_alu instid0(VALU_DEP_4) | instskip(NEXT) | instid1(VALU_DEP_3)
	s_or_b32 vcc_lo, s0, vcc_lo
	v_cndmask_b32_e64 v19, 0, 1, s1
	s_wait_alu 0xfffe
	v_add_co_ci_u32_e32 v1, vcc_lo, 0, v1, vcc_lo
	v_cmp_ne_u32_e32 vcc_lo, 0, v7
	v_mul_f64_e32 v[4:5], s[10:11], v[16:17]
	v_or_b32_e32 v16, v24, v19
	v_lshrrev_b32_e32 v19, 16, v2
	v_lshl_or_b32 v17, v20, 12, v12
	s_wait_alu 0xfffd
	v_cndmask_b32_e64 v7, 0, 1, vcc_lo
	v_cmp_gt_i32_e32 vcc_lo, 1, v20
	v_and_or_b32 v14, 0x1ff, v15, v14
	v_mul_f16_e32 v21, v56, v19
	v_cmp_eq_u32_e64 s1, 0x40f, v25
	v_lshl_or_b32 v7, v7, 9, 0x7c00
	s_wait_alu 0xfffd
	v_cndmask_b32_e32 v22, v17, v16, vcc_lo
	v_cmp_gt_i32_e32 vcc_lo, 31, v25
	v_fmac_f16_e32 v21, v53, v2
	v_lshrrev_b32_e32 v17, 8, v15
	v_bfe_u32 v23, v15, 20, 11
	s_wait_alu 0xfffd
	v_dual_cndmask_b32 v1, 0x7c00, v1 :: v_dual_and_b32 v16, 7, v22
	v_cmp_ne_u32_e32 vcc_lo, 0, v14
	v_cvt_f32_f16_e32 v21, v21
	v_mul_f16_e32 v2, v56, v2
	s_delay_alu instid0(VALU_DEP_4)
	v_cmp_eq_u32_e64 s0, 3, v16
	s_wait_alu 0xf1ff
	v_cndmask_b32_e64 v24, v1, v7, s1
	s_wait_alu 0xfffd
	v_cndmask_b32_e64 v14, 0, 1, vcc_lo
	v_cmp_lt_i32_e32 vcc_lo, 5, v16
	v_lshrrev_b32_e32 v1, 2, v22
	v_fma_f16 v2, v53, v19, -v2
	v_lshrrev_b32_e32 v25, 16, v8
	v_and_or_b32 v14, 0xffe, v17, v14
	v_cvt_f64_f32_e32 v[16:17], v21
	s_or_b32 vcc_lo, s0, vcc_lo
	v_sub_nc_u32_e32 v21, 0x3f1, v23
	s_wait_alu 0xfffe
	v_add_co_ci_u32_e32 v1, vcc_lo, 0, v1, vcc_lo
	v_cmp_ne_u32_e32 vcc_lo, 0, v12
	v_or_b32_e32 v7, 0x1000, v14
	v_med3_i32 v21, v21, 0, 13
	v_lshl_or_b32 v18, v9, 16, v18
	v_lshrrev_b32_e32 v15, 16, v15
	s_wait_alu 0xfffd
	v_cndmask_b32_e64 v12, 0, 1, vcc_lo
	v_cmp_gt_i32_e32 vcc_lo, 31, v20
	v_lshrrev_b32_e32 v22, v21, v7
	v_and_or_b32 v4, 0x1ff, v5, v4
	v_bfe_u32 v26, v5, 20, 11
	v_lshl_or_b32 v12, v12, 9, 0x7c00
	s_wait_alu 0xfffd
	v_cndmask_b32_e32 v8, 0x7c00, v1, vcc_lo
	v_cvt_f32_f16_e32 v1, v2
	v_lshlrev_b32_e32 v19, v21, v22
	v_cmp_ne_u32_e32 vcc_lo, 0, v4
	v_lshrrev_b32_e32 v21, 8, v5
	v_lshrrev_b32_e32 v5, 16, v5
	v_cvt_f64_f32_e32 v[1:2], v1
	s_wait_alu 0xfffd
	v_cndmask_b32_e64 v4, 0, 1, vcc_lo
	v_cmp_ne_u32_e32 vcc_lo, v19, v7
	v_add_nc_u32_e32 v19, 0xfffffc10, v23
	s_delay_alu instid0(VALU_DEP_3)
	v_and_or_b32 v4, 0xffe, v21, v4
	s_wait_alu 0xfffd
	v_cndmask_b32_e64 v7, 0, 1, vcc_lo
	v_cmp_eq_u32_e32 vcc_lo, 0x40f, v20
	v_sub_nc_u32_e32 v21, 0x3f1, v26
	v_or_b32_e32 v23, 0x1000, v4
	s_delay_alu instid0(VALU_DEP_4)
	v_or_b32_e32 v20, v22, v7
	s_wait_alu 0xfffd
	v_cndmask_b32_e32 v12, v8, v12, vcc_lo
	v_lshl_or_b32 v22, v19, 12, v14
	v_mul_f64_e32 v[7:8], s[10:11], v[16:17]
	v_cmp_gt_i32_e32 vcc_lo, 1, v19
	v_med3_i32 v21, v21, 0, 13
	v_and_or_b32 v16, 0x8000, v25, v24
	v_and_or_b32 v12, 0x8000, v13, v12
	s_wait_alu 0xfffd
	v_cndmask_b32_e32 v17, v22, v20, vcc_lo
	v_lshrrev_b32_e32 v20, v21, v23
	v_lshrrev_b32_e32 v22, 16, v3
	v_and_b32_e32 v13, 0xffff, v16
	v_add_co_u32 v9, vcc_lo, v10, s2
	v_and_b32_e32 v16, 7, v17
	v_lshlrev_b32_e32 v21, v21, v20
	s_wait_alu 0xfffd
	v_add_co_ci_u32_e32 v10, vcc_lo, s3, v11, vcc_lo
	v_mul_f16_e32 v11, v54, v22
	v_cmp_lt_i32_e32 vcc_lo, 5, v16
	v_cmp_eq_u32_e64 s0, 3, v16
	v_lshrrev_b32_e32 v16, 2, v17
	v_cmp_ne_u32_e64 s1, v21, v23
	v_fmac_f16_e32 v11, v51, v3
	v_mul_f64_e32 v[1:2], s[10:11], v[1:2]
	s_or_b32 vcc_lo, s0, vcc_lo
	v_add_nc_u32_e32 v21, 0xfffffc10, v26
	s_wait_alu 0xfffe
	v_add_co_ci_u32_e32 v16, vcc_lo, 0, v16, vcc_lo
	v_cndmask_b32_e64 v17, 0, 1, s1
	v_cvt_f32_f16_e32 v11, v11
	v_cmp_ne_u32_e32 vcc_lo, 0, v14
	v_lshl_or_b32 v23, v12, 16, v13
	v_cmp_eq_u32_e64 s1, 0x40f, v19
	v_or_b32_e32 v17, v20, v17
	v_lshl_or_b32 v20, v21, 12, v4
	s_wait_alu 0xfffd
	v_cndmask_b32_e64 v13, 0, 1, vcc_lo
	v_cvt_f64_f32_e32 v[11:12], v11
	v_cmp_gt_i32_e32 vcc_lo, 1, v21
	v_mul_f16_e32 v3, v54, v3
	v_and_or_b32 v7, 0x1ff, v8, v7
	v_lshrrev_b32_e32 v25, 8, v8
	v_bfe_u32 v26, v8, 20, 11
	s_wait_alu 0xfffd
	v_cndmask_b32_e32 v17, v20, v17, vcc_lo
	v_cmp_gt_i32_e32 vcc_lo, 31, v19
	v_cmp_ne_u32_e64 s0, 0, v7
	v_lshl_or_b32 v20, v13, 9, 0x7c00
	v_sub_nc_u32_e32 v19, 0x3f1, v26
	v_and_b32_e32 v24, 7, v17
	s_wait_alu 0xfffd
	v_cndmask_b32_e32 v16, 0x7c00, v16, vcc_lo
	v_add_co_u32 v13, vcc_lo, v9, s2
	s_wait_alu 0xfffd
	v_add_co_ci_u32_e32 v14, vcc_lo, s3, v10, vcc_lo
	v_cmp_lt_i32_e32 vcc_lo, 5, v24
	s_wait_alu 0xf1ff
	v_cndmask_b32_e64 v7, 0, 1, s0
	v_cmp_eq_u32_e64 s0, 3, v24
	v_lshrrev_b32_e32 v17, 2, v17
	v_cndmask_b32_e64 v16, v16, v20, s1
	v_med3_i32 v19, v19, 0, 13
	v_and_or_b32 v7, 0xffe, v25, v7
	s_or_b32 vcc_lo, s0, vcc_lo
	v_and_or_b32 v1, 0x1ff, v2, v1
	s_wait_alu 0xfffe
	v_add_co_ci_u32_e32 v17, vcc_lo, 0, v17, vcc_lo
	v_cmp_ne_u32_e32 vcc_lo, 0, v4
	v_or_b32_e32 v20, 0x1000, v7
	v_fma_f16 v22, v51, v22, -v3
	v_bfe_u32 v27, v2, 20, 11
	v_and_or_b32 v15, 0x8000, v15, v16
	s_wait_alu 0xfffd
	v_cndmask_b32_e64 v4, 0, 1, vcc_lo
	v_cmp_gt_i32_e32 vcc_lo, 31, v21
	v_lshrrev_b32_e32 v24, v19, v20
	global_store_b32 v[9:10], v18, off
	global_store_b32 v[13:14], v23, off
	v_add_nc_u32_e32 v18, 0xfffffc10, v27
	v_lshl_or_b32 v25, v4, 9, 0x7c00
	s_wait_alu 0xfffd
	v_cndmask_b32_e32 v17, 0x7c00, v17, vcc_lo
	v_cmp_ne_u32_e32 vcc_lo, 0, v1
	v_lshlrev_b32_e32 v19, v19, v24
	v_mul_f64_e32 v[3:4], s[10:11], v[11:12]
	v_cvt_f32_f16_e32 v11, v22
	v_lshrrev_b32_e32 v22, 8, v2
	s_wait_alu 0xfffd
	v_cndmask_b32_e64 v1, 0, 1, vcc_lo
	v_cmp_eq_u32_e32 vcc_lo, 0x40f, v21
	v_lshrrev_b32_e32 v2, 16, v2
	v_cvt_f64_f32_e32 v[11:12], v11
	s_delay_alu instid0(VALU_DEP_4)
	v_and_or_b32 v21, 0xffe, v22, v1
	s_wait_alu 0xfffd
	v_cndmask_b32_e32 v17, v17, v25, vcc_lo
	v_cmp_ne_u32_e32 vcc_lo, v19, v20
	v_sub_nc_u32_e32 v1, 0x3f1, v27
	v_add_nc_u32_e32 v20, 0xfffffc10, v26
	v_or_b32_e32 v22, 0x1000, v21
	v_lshrrev_b32_e32 v25, 16, v6
	s_wait_alu 0xfffd
	v_cndmask_b32_e64 v19, 0, 1, vcc_lo
	v_med3_i32 v1, v1, 0, 13
	v_cmp_gt_i32_e32 vcc_lo, 1, v20
	v_and_or_b32 v5, 0x8000, v5, v17
	s_delay_alu instid0(VALU_DEP_4) | instskip(SKIP_3) | instid1(VALU_DEP_2)
	v_or_b32_e32 v19, v24, v19
	v_lshl_or_b32 v24, v20, 12, v7
	v_lshrrev_b32_e32 v26, v1, v22
	s_wait_alu 0xfffd
	v_cndmask_b32_e32 v16, v24, v19, vcc_lo
	v_mul_f16_e32 v19, v52, v25
	s_delay_alu instid0(VALU_DEP_3) | instskip(SKIP_1) | instid1(VALU_DEP_4)
	v_lshlrev_b32_e32 v17, v1, v26
	v_and_b32_e32 v1, 0xffff, v15
	v_and_b32_e32 v15, 7, v16
	s_delay_alu instid0(VALU_DEP_4) | instskip(NEXT) | instid1(VALU_DEP_4)
	v_fmac_f16_e32 v19, v49, v6
	v_cmp_ne_u32_e64 s0, v17, v22
	s_delay_alu instid0(VALU_DEP_4)
	v_lshl_or_b32 v1, v5, 16, v1
	v_mul_f16_e32 v6, v52, v6
	v_cmp_lt_i32_e32 vcc_lo, 5, v15
	v_cvt_f32_f16_e32 v5, v19
	s_wait_alu 0xf1ff
	v_cndmask_b32_e64 v17, 0, 1, s0
	v_cmp_eq_u32_e64 s0, 3, v15
	v_and_or_b32 v3, 0x1ff, v4, v3
	v_bfe_u32 v19, v4, 20, 11
	v_cvt_f64_f32_e32 v[9:10], v5
	v_lshrrev_b32_e32 v5, 2, v16
	s_or_b32 vcc_lo, s0, vcc_lo
	v_cmp_ne_u32_e64 s1, 0, v3
	v_or_b32_e32 v15, v26, v17
	v_lshl_or_b32 v16, v18, 12, v21
	s_wait_alu 0xfffe
	v_add_co_ci_u32_e32 v5, vcc_lo, 0, v5, vcc_lo
	v_mul_f64_e32 v[11:12], s[10:11], v[11:12]
	v_cmp_gt_i32_e32 vcc_lo, 1, v18
	s_wait_alu 0xf1ff
	v_cndmask_b32_e64 v3, 0, 1, s1
	v_lshrrev_b32_e32 v17, 8, v4
	v_cmp_eq_u32_e64 s1, 0x40f, v20
	v_fma_f16 v6, v49, v25, -v6
	s_wait_alu 0xfffd
	v_cndmask_b32_e32 v15, v16, v15, vcc_lo
	v_cmp_ne_u32_e32 vcc_lo, 0, v7
	v_and_or_b32 v16, 0xffe, v17, v3
	v_sub_nc_u32_e32 v3, 0x3f1, v19
	v_add_nc_u32_e32 v19, 0xfffffc10, v19
	v_and_b32_e32 v17, 7, v15
	s_wait_alu 0xfffd
	v_cndmask_b32_e64 v7, 0, 1, vcc_lo
	v_cmp_gt_i32_e32 vcc_lo, 31, v20
	v_or_b32_e32 v22, 0x1000, v16
	v_med3_i32 v3, v3, 0, 13
	v_cmp_eq_u32_e64 s0, 3, v17
	v_lshrrev_b32_e32 v15, 2, v15
	s_wait_alu 0xfffd
	v_cndmask_b32_e32 v5, 0x7c00, v5, vcc_lo
	v_cmp_lt_i32_e32 vcc_lo, 5, v17
	v_lshrrev_b32_e32 v23, v3, v22
	v_lshl_or_b32 v7, v7, 9, 0x7c00
	v_lshrrev_b32_e32 v20, 16, v8
	s_or_b32 vcc_lo, s0, vcc_lo
	s_delay_alu instid0(VALU_DEP_3)
	v_lshlrev_b32_e32 v3, v3, v23
	s_wait_alu 0xfffe
	v_add_co_ci_u32_e32 v15, vcc_lo, 0, v15, vcc_lo
	v_cmp_ne_u32_e32 vcc_lo, 0, v21
	v_cndmask_b32_e64 v5, v5, v7, s1
	v_mul_f64_e32 v[7:8], s[10:11], v[9:10]
	s_wait_dscnt 0x0
	v_lshrrev_b32_e32 v21, 16, v0
	s_wait_alu 0xfffd
	v_cndmask_b32_e64 v17, 0, 1, vcc_lo
	v_cmp_ne_u32_e32 vcc_lo, v3, v22
	v_and_or_b32 v11, 0x1ff, v12, v11
	s_wait_alu 0xfffd
	v_cndmask_b32_e64 v3, 0, 1, vcc_lo
	v_cmp_gt_i32_e32 vcc_lo, 31, v18
	v_lshl_or_b32 v10, v17, 9, 0x7c00
	v_and_or_b32 v17, 0x8000, v20, v5
	v_cvt_f32_f16_e32 v5, v6
	v_or_b32_e32 v3, v23, v3
	s_wait_alu 0xfffd
	v_cndmask_b32_e32 v9, 0x7c00, v15, vcc_lo
	v_lshl_or_b32 v15, v19, 12, v16
	v_cmp_gt_i32_e32 vcc_lo, 1, v19
	v_cvt_f64_f32_e32 v[5:6], v5
	v_bfe_u32 v20, v12, 20, 11
	v_and_b32_e32 v17, 0xffff, v17
	s_wait_alu 0xfffd
	v_cndmask_b32_e32 v3, v15, v3, vcc_lo
	v_cmp_ne_u32_e32 vcc_lo, 0, v11
	v_lshrrev_b32_e32 v15, 8, v12
	v_lshrrev_b32_e32 v12, 16, v12
	s_wait_alu 0xfffd
	v_cndmask_b32_e64 v11, 0, 1, vcc_lo
	v_cmp_eq_u32_e32 vcc_lo, 0x40f, v18
	v_mul_f16_e32 v18, v50, v21
	s_delay_alu instid0(VALU_DEP_3)
	v_and_or_b32 v11, 0xffe, v15, v11
	s_wait_alu 0xfffd
	v_dual_cndmask_b32 v9, v9, v10 :: v_dual_and_b32 v10, 7, v3
	v_sub_nc_u32_e32 v15, 0x3f1, v20
	v_fmac_f16_e32 v18, v48, v0
	v_or_b32_e32 v22, 0x1000, v11
	s_delay_alu instid0(VALU_DEP_4)
	v_and_or_b32 v23, 0x8000, v2, v9
	v_cmp_lt_i32_e32 vcc_lo, 5, v10
	v_cmp_eq_u32_e64 s0, 3, v10
	v_lshrrev_b32_e32 v2, 2, v3
	v_med3_i32 v15, v15, 0, 13
	v_cvt_f32_f16_e32 v3, v18
	v_and_or_b32 v7, 0x1ff, v8, v7
	s_or_b32 vcc_lo, s0, vcc_lo
	v_mul_f16_e32 v0, v50, v0
	s_wait_alu 0xfffe
	v_add_co_ci_u32_e32 v18, vcc_lo, 0, v2, vcc_lo
	v_lshrrev_b32_e32 v9, v15, v22
	v_cmp_ne_u32_e32 vcc_lo, 0, v16
	v_cvt_f64_f32_e32 v[2:3], v3
	v_fma_f16 v0, v48, v21, -v0
	v_add_nc_u32_e32 v20, 0xfffffc10, v20
	v_lshlrev_b32_e32 v10, v15, v9
	s_wait_alu 0xfffd
	v_cndmask_b32_e64 v15, 0, 1, vcc_lo
	v_cmp_ne_u32_e32 vcc_lo, 0, v7
	v_cvt_f32_f16_e32 v0, v0
	v_mul_f64_e32 v[5:6], s[10:11], v[5:6]
	v_lshl_or_b32 v24, v20, 12, v11
	v_lshrrev_b32_e32 v16, 8, v8
	s_wait_alu 0xfffd
	v_cndmask_b32_e64 v7, 0, 1, vcc_lo
	v_cmp_ne_u32_e32 vcc_lo, v10, v22
	v_bfe_u32 v21, v8, 20, 11
	v_lshl_or_b32 v15, v15, 9, 0x7c00
	v_lshl_or_b32 v17, v23, 16, v17
	v_and_or_b32 v7, 0xffe, v16, v7
	s_wait_alu 0xfffd
	v_cndmask_b32_e64 v10, 0, 1, vcc_lo
	v_cmp_gt_i32_e32 vcc_lo, 31, v19
	v_sub_nc_u32_e32 v16, 0x3f1, v21
	v_lshrrev_b32_e32 v8, 16, v8
	s_delay_alu instid0(VALU_DEP_4)
	v_or_b32_e32 v22, v9, v10
	v_cvt_f64_f32_e32 v[9:10], v0
	s_wait_alu 0xfffd
	v_cndmask_b32_e32 v18, 0x7c00, v18, vcc_lo
	v_cmp_gt_i32_e32 vcc_lo, 1, v20
	v_or_b32_e32 v0, 0x1000, v7
	v_med3_i32 v16, v16, 0, 13
	s_wait_alu 0xfffd
	v_cndmask_b32_e32 v22, v24, v22, vcc_lo
	v_add_co_u32 v13, vcc_lo, v13, s2
	s_wait_alu 0xfffd
	v_add_co_ci_u32_e32 v14, vcc_lo, s3, v14, vcc_lo
	s_delay_alu instid0(VALU_DEP_3) | instskip(SKIP_3) | instid1(VALU_DEP_4)
	v_and_b32_e32 v24, 7, v22
	v_cmp_eq_u32_e32 vcc_lo, 0x40f, v19
	v_lshrrev_b32_e32 v25, v16, v0
	v_mul_f64_e32 v[2:3], s[10:11], v[2:3]
	v_cmp_eq_u32_e64 s0, 3, v24
	s_wait_alu 0xfffd
	v_cndmask_b32_e32 v15, v18, v15, vcc_lo
	v_cmp_lt_i32_e32 vcc_lo, 5, v24
	v_lshrrev_b32_e32 v18, 16, v4
	v_lshrrev_b32_e32 v4, 2, v22
	v_lshlrev_b32_e32 v16, v16, v25
	v_and_or_b32 v22, 0x1ff, v6, v5
	s_or_b32 vcc_lo, s0, vcc_lo
	v_bfe_u32 v23, v6, 20, 11
	s_wait_alu 0xfffe
	v_add_co_ci_u32_e32 v4, vcc_lo, 0, v4, vcc_lo
	v_cmp_ne_u32_e32 vcc_lo, 0, v11
	v_cmp_ne_u32_e64 s1, v16, v0
	v_add_nc_u32_e32 v16, 0xfffffc10, v21
	v_and_or_b32 v15, 0x8000, v18, v15
	s_wait_alu 0xfffd
	v_cndmask_b32_e64 v11, 0, 1, vcc_lo
	v_cmp_gt_i32_e32 vcc_lo, 31, v20
	s_wait_alu 0xf1ff
	v_cndmask_b32_e64 v0, 0, 1, s1
	v_lshl_or_b32 v19, v16, 12, v7
	v_and_b32_e32 v15, 0xffff, v15
	v_lshl_or_b32 v11, v11, 9, 0x7c00
	s_wait_alu 0xfffd
	v_cndmask_b32_e32 v21, 0x7c00, v4, vcc_lo
	v_mul_f64_e32 v[4:5], s[10:11], v[9:10]
	v_add_co_u32 v9, vcc_lo, v13, s2
	s_wait_alu 0xfffd
	v_add_co_ci_u32_e32 v10, vcc_lo, s3, v14, vcc_lo
	v_or_b32_e32 v0, v25, v0
	v_cmp_gt_i32_e32 vcc_lo, 1, v16
	s_wait_alu 0xfffd
	s_delay_alu instid0(VALU_DEP_2)
	v_cndmask_b32_e32 v0, v19, v0, vcc_lo
	v_cmp_ne_u32_e32 vcc_lo, 0, v22
	v_lshrrev_b32_e32 v22, 8, v6
	v_and_or_b32 v2, 0x1ff, v3, v2
	v_lshrrev_b32_e32 v6, 16, v6
	s_wait_alu 0xfffd
	v_cndmask_b32_e64 v19, 0, 1, vcc_lo
	v_cmp_eq_u32_e32 vcc_lo, 0x40f, v20
	v_and_b32_e32 v20, 7, v0
	v_lshrrev_b32_e32 v0, 2, v0
	s_delay_alu instid0(VALU_DEP_4)
	v_and_or_b32 v19, 0xffe, v22, v19
	s_wait_alu 0xfffd
	v_cndmask_b32_e32 v11, v21, v11, vcc_lo
	v_sub_nc_u32_e32 v21, 0x3f1, v23
	v_cmp_lt_i32_e32 vcc_lo, 5, v20
	v_cmp_eq_u32_e64 s0, 3, v20
	v_bfe_u32 v22, v3, 20, 11
	v_and_or_b32 v11, 0x8000, v12, v11
	v_or_b32_e32 v12, 0x1000, v19
	v_med3_i32 v18, v21, 0, 13
	s_or_b32 vcc_lo, s0, vcc_lo
	v_lshrrev_b32_e32 v21, 8, v3
	s_wait_alu 0xfffe
	v_add_co_ci_u32_e32 v0, vcc_lo, 0, v0, vcc_lo
	v_lshrrev_b32_e32 v20, v18, v12
	v_cmp_ne_u32_e32 vcc_lo, 0, v2
	v_lshrrev_b32_e32 v3, 16, v3
	v_and_or_b32 v4, 0x1ff, v5, v4
	v_lshrrev_b32_e32 v24, 8, v5
	v_lshlrev_b32_e32 v18, v18, v20
	s_wait_alu 0xfffd
	v_cndmask_b32_e64 v2, 0, 1, vcc_lo
	v_cmp_ne_u32_e32 vcc_lo, 0, v7
	v_bfe_u32 v25, v5, 20, 11
	v_lshrrev_b32_e32 v5, 16, v5
	s_delay_alu instid0(VALU_DEP_4)
	v_and_or_b32 v2, 0xffe, v21, v2
	s_wait_alu 0xfffd
	v_cndmask_b32_e64 v7, 0, 1, vcc_lo
	v_cmp_ne_u32_e32 vcc_lo, v18, v12
	v_sub_nc_u32_e32 v21, 0x3f1, v22
	v_add_nc_u32_e32 v18, 0xfffffc10, v23
	v_or_b32_e32 v23, 0x1000, v2
	v_lshl_or_b32 v7, v7, 9, 0x7c00
	s_wait_alu 0xfffd
	v_cndmask_b32_e64 v12, 0, 1, vcc_lo
	v_cmp_gt_i32_e32 vcc_lo, 31, v16
	v_med3_i32 v21, v21, 0, 13
	s_delay_alu instid0(VALU_DEP_3)
	v_or_b32_e32 v12, v20, v12
	s_wait_alu 0xfffd
	v_cndmask_b32_e32 v0, 0x7c00, v0, vcc_lo
	v_cmp_ne_u32_e32 vcc_lo, 0, v4
	v_lshl_or_b32 v20, v18, 12, v19
	v_lshrrev_b32_e32 v26, v21, v23
	s_wait_alu 0xfffd
	v_cndmask_b32_e64 v4, 0, 1, vcc_lo
	v_cmp_gt_i32_e32 vcc_lo, 1, v18
	s_delay_alu instid0(VALU_DEP_2)
	v_and_or_b32 v4, 0xffe, v24, v4
	v_sub_nc_u32_e32 v24, 0x3f1, v25
	s_wait_alu 0xfffd
	v_cndmask_b32_e32 v12, v20, v12, vcc_lo
	v_lshlrev_b32_e32 v20, v21, v26
	v_cmp_eq_u32_e32 vcc_lo, 0x40f, v16
	v_or_b32_e32 v21, 0x1000, v4
	v_med3_i32 v24, v24, 0, 13
	v_add_nc_u32_e32 v16, 0xfffffc10, v22
	s_wait_alu 0xfffd
	v_dual_cndmask_b32 v0, v0, v7 :: v_dual_and_b32 v27, 7, v12
	v_cmp_ne_u32_e32 vcc_lo, v20, v23
	v_lshrrev_b32_e32 v20, v24, v21
	v_lshl_or_b32 v22, v16, 12, v2
	v_cmp_gt_i32_e64 s1, 1, v16
	v_cmp_eq_u32_e64 s0, 3, v27
	s_wait_alu 0xfffd
	v_cndmask_b32_e64 v7, 0, 1, vcc_lo
	v_lshlrev_b32_e32 v23, v24, v20
	v_cmp_lt_i32_e32 vcc_lo, 5, v27
	v_lshrrev_b32_e32 v12, 2, v12
	v_and_or_b32 v0, 0x8000, v8, v0
	v_or_b32_e32 v7, v26, v7
	s_or_b32 vcc_lo, s0, vcc_lo
	s_wait_alu 0xfffe
	v_add_co_ci_u32_e32 v12, vcc_lo, 0, v12, vcc_lo
	s_delay_alu instid0(VALU_DEP_2)
	v_cndmask_b32_e64 v7, v22, v7, s1
	v_cmp_ne_u32_e64 s1, v23, v21
	v_add_nc_u32_e32 v22, 0xfffffc10, v25
	v_cmp_ne_u32_e32 vcc_lo, 0, v19
	v_and_b32_e32 v0, 0xffff, v0
	v_and_b32_e32 v23, 7, v7
	s_wait_alu 0xf1ff
	v_cndmask_b32_e64 v21, 0, 1, s1
	v_cmp_gt_i32_e64 s0, 1, v22
	s_wait_alu 0xfffd
	v_cndmask_b32_e64 v19, 0, 1, vcc_lo
	v_lshrrev_b32_e32 v7, 2, v7
	v_cmp_lt_i32_e32 vcc_lo, 5, v23
	v_or_b32_e32 v20, v20, v21
	v_lshl_or_b32 v21, v22, 12, v4
	v_cmp_gt_i32_e64 s1, 31, v18
	v_lshl_or_b32 v19, v19, 9, 0x7c00
	s_wait_alu 0xf1ff
	s_delay_alu instid0(VALU_DEP_3) | instskip(SKIP_3) | instid1(VALU_DEP_4)
	v_cndmask_b32_e64 v8, v21, v20, s0
	v_cmp_eq_u32_e64 s0, 3, v23
	v_cndmask_b32_e64 v12, 0x7c00, v12, s1
	v_cmp_eq_u32_e64 s1, 0x40f, v18
	v_and_b32_e32 v20, 7, v8
	s_delay_alu instid0(VALU_DEP_4)
	s_or_b32 vcc_lo, s0, vcc_lo
	v_lshrrev_b32_e32 v8, 2, v8
	s_wait_alu 0xfffe
	v_add_co_ci_u32_e32 v7, vcc_lo, 0, v7, vcc_lo
	v_cmp_ne_u32_e32 vcc_lo, 0, v2
	v_cmp_eq_u32_e64 s0, 3, v20
	v_cndmask_b32_e64 v12, v12, v19, s1
	v_cmp_gt_i32_e64 s1, 31, v16
	s_wait_alu 0xfffd
	v_cndmask_b32_e64 v2, 0, 1, vcc_lo
	v_cmp_lt_i32_e32 vcc_lo, 5, v20
	v_and_or_b32 v6, 0x8000, v6, v12
	s_wait_alu 0xf1ff
	v_cndmask_b32_e64 v7, 0x7c00, v7, s1
	v_lshl_or_b32 v2, v2, 9, 0x7c00
	s_or_b32 vcc_lo, s0, vcc_lo
	v_lshl_or_b32 v0, v6, 16, v0
	s_wait_alu 0xfffe
	v_add_co_ci_u32_e32 v8, vcc_lo, 0, v8, vcc_lo
	v_cmp_ne_u32_e32 vcc_lo, 0, v4
	s_wait_alu 0xfffd
	v_cndmask_b32_e64 v4, 0, 1, vcc_lo
	v_cmp_eq_u32_e32 vcc_lo, 0x40f, v16
	s_delay_alu instid0(VALU_DEP_2)
	v_lshl_or_b32 v4, v4, 9, 0x7c00
	s_wait_alu 0xfffd
	v_cndmask_b32_e32 v2, v7, v2, vcc_lo
	v_cmp_gt_i32_e32 vcc_lo, 31, v22
	s_wait_alu 0xfffd
	v_cndmask_b32_e32 v7, 0x7c00, v8, vcc_lo
	v_cmp_eq_u32_e32 vcc_lo, 0x40f, v22
	v_lshl_or_b32 v8, v11, 16, v15
	v_and_or_b32 v11, 0x8000, v3, v2
	s_wait_alu 0xfffd
	v_cndmask_b32_e32 v4, v7, v4, vcc_lo
	v_add_co_u32 v2, vcc_lo, v9, s2
	s_wait_alu 0xfffd
	v_add_co_ci_u32_e32 v3, vcc_lo, s3, v10, vcc_lo
	s_delay_alu instid0(VALU_DEP_3) | instskip(SKIP_4) | instid1(VALU_DEP_3)
	v_and_or_b32 v6, 0x8000, v5, v4
	v_and_b32_e32 v7, 0xffff, v11
	v_add_co_u32 v4, vcc_lo, v2, s2
	s_wait_alu 0xfffd
	v_add_co_ci_u32_e32 v5, vcc_lo, s3, v3, vcc_lo
	v_lshl_or_b32 v11, v6, 16, v7
	s_delay_alu instid0(VALU_DEP_3) | instskip(SKIP_1) | instid1(VALU_DEP_3)
	v_add_co_u32 v6, vcc_lo, v4, s2
	s_wait_alu 0xfffd
	v_add_co_ci_u32_e32 v7, vcc_lo, s3, v5, vcc_lo
	global_store_b32 v[13:14], v1, off
	global_store_b32 v[9:10], v17, off
	;; [unrolled: 1-line block ×5, first 2 shown]
.LBB0_2:
	s_nop 0
	s_sendmsg sendmsg(MSG_DEALLOC_VGPRS)
	s_endpgm
	.section	.rodata,"a",@progbits
	.p2align	6, 0x0
	.amdhsa_kernel bluestein_single_back_len320_dim1_half_op_CI_CI
		.amdhsa_group_segment_fixed_size 5120
		.amdhsa_private_segment_fixed_size 0
		.amdhsa_kernarg_size 104
		.amdhsa_user_sgpr_count 2
		.amdhsa_user_sgpr_dispatch_ptr 0
		.amdhsa_user_sgpr_queue_ptr 0
		.amdhsa_user_sgpr_kernarg_segment_ptr 1
		.amdhsa_user_sgpr_dispatch_id 0
		.amdhsa_user_sgpr_private_segment_size 0
		.amdhsa_wavefront_size32 1
		.amdhsa_uses_dynamic_stack 0
		.amdhsa_enable_private_segment 0
		.amdhsa_system_sgpr_workgroup_id_x 1
		.amdhsa_system_sgpr_workgroup_id_y 0
		.amdhsa_system_sgpr_workgroup_id_z 0
		.amdhsa_system_sgpr_workgroup_info 0
		.amdhsa_system_vgpr_workitem_id 0
		.amdhsa_next_free_vgpr 205
		.amdhsa_next_free_sgpr 20
		.amdhsa_reserve_vcc 1
		.amdhsa_float_round_mode_32 0
		.amdhsa_float_round_mode_16_64 0
		.amdhsa_float_denorm_mode_32 3
		.amdhsa_float_denorm_mode_16_64 3
		.amdhsa_fp16_overflow 0
		.amdhsa_workgroup_processor_mode 1
		.amdhsa_memory_ordered 1
		.amdhsa_forward_progress 0
		.amdhsa_round_robin_scheduling 0
		.amdhsa_exception_fp_ieee_invalid_op 0
		.amdhsa_exception_fp_denorm_src 0
		.amdhsa_exception_fp_ieee_div_zero 0
		.amdhsa_exception_fp_ieee_overflow 0
		.amdhsa_exception_fp_ieee_underflow 0
		.amdhsa_exception_fp_ieee_inexact 0
		.amdhsa_exception_int_div_zero 0
	.end_amdhsa_kernel
	.text
.Lfunc_end0:
	.size	bluestein_single_back_len320_dim1_half_op_CI_CI, .Lfunc_end0-bluestein_single_back_len320_dim1_half_op_CI_CI
                                        ; -- End function
	.section	.AMDGPU.csdata,"",@progbits
; Kernel info:
; codeLenInByte = 30148
; NumSgprs: 22
; NumVgprs: 205
; ScratchSize: 0
; MemoryBound: 0
; FloatMode: 240
; IeeeMode: 1
; LDSByteSize: 5120 bytes/workgroup (compile time only)
; SGPRBlocks: 2
; VGPRBlocks: 25
; NumSGPRsForWavesPerEU: 22
; NumVGPRsForWavesPerEU: 205
; Occupancy: 7
; WaveLimiterHint : 1
; COMPUTE_PGM_RSRC2:SCRATCH_EN: 0
; COMPUTE_PGM_RSRC2:USER_SGPR: 2
; COMPUTE_PGM_RSRC2:TRAP_HANDLER: 0
; COMPUTE_PGM_RSRC2:TGID_X_EN: 1
; COMPUTE_PGM_RSRC2:TGID_Y_EN: 0
; COMPUTE_PGM_RSRC2:TGID_Z_EN: 0
; COMPUTE_PGM_RSRC2:TIDIG_COMP_CNT: 0
	.text
	.p2alignl 7, 3214868480
	.fill 96, 4, 3214868480
	.type	__hip_cuid_7e454318dca2b96e,@object ; @__hip_cuid_7e454318dca2b96e
	.section	.bss,"aw",@nobits
	.globl	__hip_cuid_7e454318dca2b96e
__hip_cuid_7e454318dca2b96e:
	.byte	0                               ; 0x0
	.size	__hip_cuid_7e454318dca2b96e, 1

	.ident	"AMD clang version 19.0.0git (https://github.com/RadeonOpenCompute/llvm-project roc-6.4.0 25133 c7fe45cf4b819c5991fe208aaa96edf142730f1d)"
	.section	".note.GNU-stack","",@progbits
	.addrsig
	.addrsig_sym __hip_cuid_7e454318dca2b96e
	.amdgpu_metadata
---
amdhsa.kernels:
  - .args:
      - .actual_access:  read_only
        .address_space:  global
        .offset:         0
        .size:           8
        .value_kind:     global_buffer
      - .actual_access:  read_only
        .address_space:  global
        .offset:         8
        .size:           8
        .value_kind:     global_buffer
      - .actual_access:  read_only
        .address_space:  global
        .offset:         16
        .size:           8
        .value_kind:     global_buffer
      - .actual_access:  read_only
        .address_space:  global
        .offset:         24
        .size:           8
        .value_kind:     global_buffer
      - .actual_access:  read_only
        .address_space:  global
        .offset:         32
        .size:           8
        .value_kind:     global_buffer
      - .offset:         40
        .size:           8
        .value_kind:     by_value
      - .address_space:  global
        .offset:         48
        .size:           8
        .value_kind:     global_buffer
      - .address_space:  global
        .offset:         56
        .size:           8
        .value_kind:     global_buffer
      - .address_space:  global
        .offset:         64
        .size:           8
        .value_kind:     global_buffer
      - .address_space:  global
        .offset:         72
        .size:           8
        .value_kind:     global_buffer
      - .offset:         80
        .size:           4
        .value_kind:     by_value
      - .address_space:  global
        .offset:         88
        .size:           8
        .value_kind:     global_buffer
      - .address_space:  global
        .offset:         96
        .size:           8
        .value_kind:     global_buffer
    .group_segment_fixed_size: 5120
    .kernarg_segment_align: 8
    .kernarg_segment_size: 104
    .language:       OpenCL C
    .language_version:
      - 2
      - 0
    .max_flat_workgroup_size: 64
    .name:           bluestein_single_back_len320_dim1_half_op_CI_CI
    .private_segment_fixed_size: 0
    .sgpr_count:     22
    .sgpr_spill_count: 0
    .symbol:         bluestein_single_back_len320_dim1_half_op_CI_CI.kd
    .uniform_work_group_size: 1
    .uses_dynamic_stack: false
    .vgpr_count:     205
    .vgpr_spill_count: 0
    .wavefront_size: 32
    .workgroup_processor_mode: 1
amdhsa.target:   amdgcn-amd-amdhsa--gfx1201
amdhsa.version:
  - 1
  - 2
...

	.end_amdgpu_metadata
